;; amdgpu-corpus repo=ROCm/rocFFT kind=compiled arch=gfx1030 opt=O3
	.text
	.amdgcn_target "amdgcn-amd-amdhsa--gfx1030"
	.amdhsa_code_object_version 6
	.protected	bluestein_single_back_len1683_dim1_half_op_CI_CI ; -- Begin function bluestein_single_back_len1683_dim1_half_op_CI_CI
	.globl	bluestein_single_back_len1683_dim1_half_op_CI_CI
	.p2align	8
	.type	bluestein_single_back_len1683_dim1_half_op_CI_CI,@function
bluestein_single_back_len1683_dim1_half_op_CI_CI: ; @bluestein_single_back_len1683_dim1_half_op_CI_CI
; %bb.0:
	s_load_dwordx4 s[8:11], s[4:5], 0x28
	v_mul_u32_u24_e32 v1, 0x506, v0
	v_mov_b32_e32 v25, 0
	s_mov_b32 s0, exec_lo
	v_lshrrev_b32_e32 v1, 16, v1
	v_add_nc_u32_e32 v24, s6, v1
	s_waitcnt lgkmcnt(0)
	v_cmpx_gt_u64_e64 s[8:9], v[24:25]
	s_cbranch_execz .LBB0_15
; %bb.1:
	s_clause 0x1
	s_load_dwordx4 s[0:3], s[4:5], 0x18
	s_load_dwordx2 s[6:7], s[4:5], 0x0
	v_mul_lo_u16 v1, v1, 51
	v_sub_nc_u16 v11, v0, v1
	v_and_b32_e32 v124, 0xffff, v11
	v_lshlrev_b32_e32 v107, 2, v124
	v_or_b32_e32 v108, 0x600, v124
	s_waitcnt lgkmcnt(0)
	s_load_dwordx4 s[12:15], s[0:1], 0x0
	v_add_co_u32 v22, s0, s6, v107
	v_add_co_ci_u32_e64 v23, null, s7, 0, s0
	v_add_nc_u32_e32 v8, 0xe00, v107
	v_add_nc_u32_e32 v9, 0x1200, v107
	;; [unrolled: 1-line block ×3, first 2 shown]
	s_waitcnt lgkmcnt(0)
	v_mad_u64_u32 v[0:1], null, s14, v24, 0
	v_mad_u64_u32 v[2:3], null, s12, v124, 0
	s_mul_i32 s1, s13, 0x63
	s_mul_hi_u32 s8, s12, 0x63
	s_mul_i32 s0, s12, 0x63
	s_add_i32 s1, s8, s1
	s_lshl_b64 s[16:17], s[0:1], 2
	v_mad_u64_u32 v[4:5], null, s15, v24, v[1:2]
	v_mad_u64_u32 v[5:6], null, s13, v124, v[3:4]
	v_mov_b32_e32 v1, v4
	v_lshlrev_b64 v[0:1], 2, v[0:1]
	v_mov_b32_e32 v3, v5
	v_lshlrev_b64 v[4:5], 2, v[2:3]
	v_add_co_u32 v2, vcc_lo, s10, v0
	v_add_co_ci_u32_e32 v3, vcc_lo, s11, v1, vcc_lo
	v_add_co_u32 v0, vcc_lo, v2, v4
	v_add_co_ci_u32_e32 v1, vcc_lo, v3, v5, vcc_lo
	;; [unrolled: 2-line block ×3, first 2 shown]
	s_clause 0x5
	global_load_dword v126, v107, s[6:7]
	global_load_dword v125, v107, s[6:7] offset:396
	global_load_dword v123, v107, s[6:7] offset:792
	;; [unrolled: 1-line block ×5, first 2 shown]
	s_clause 0x1
	global_load_dword v12, v[0:1], off
	global_load_dword v13, v[4:5], off
	v_add_co_u32 v0, vcc_lo, v4, s16
	v_add_co_ci_u32_e32 v1, vcc_lo, s17, v5, vcc_lo
	v_add_co_u32 v20, vcc_lo, 0x800, v22
	v_add_co_ci_u32_e32 v21, vcc_lo, 0, v23, vcc_lo
	;; [unrolled: 2-line block ×3, first 2 shown]
	s_clause 0x1
	global_load_dword v14, v[0:1], off
	global_load_dword v15, v[4:5], off
	v_add_co_u32 v0, vcc_lo, v4, s16
	v_add_co_ci_u32_e32 v1, vcc_lo, s17, v5, vcc_lo
	v_add_co_u32 v4, vcc_lo, v0, s16
	v_add_co_ci_u32_e32 v5, vcc_lo, s17, v1, vcc_lo
	global_load_dword v25, v[0:1], off
	v_add_co_u32 v0, vcc_lo, v4, s16
	v_add_co_ci_u32_e32 v1, vcc_lo, s17, v5, vcc_lo
	global_load_dword v26, v[4:5], off
	v_add_co_u32 v4, vcc_lo, v0, s16
	v_add_co_ci_u32_e32 v5, vcc_lo, s17, v1, vcc_lo
	v_add_co_u32 v18, vcc_lo, 0x1000, v22
	v_add_co_ci_u32_e32 v19, vcc_lo, 0, v23, vcc_lo
	global_load_dword v119, v[20:21], off offset:328
	global_load_dword v27, v[0:1], off
	global_load_dword v28, v[4:5], off
	v_add_co_u32 v0, vcc_lo, v4, s16
	v_add_co_ci_u32_e32 v1, vcc_lo, s17, v5, vcc_lo
	s_clause 0x3
	global_load_dword v118, v[20:21], off offset:724
	global_load_dword v117, v[20:21], off offset:1120
	;; [unrolled: 1-line block ×4, first 2 shown]
	v_add_co_u32 v4, vcc_lo, v0, s16
	v_add_co_ci_u32_e32 v5, vcc_lo, s17, v1, vcc_lo
	global_load_dword v29, v[0:1], off
	v_add_co_u32 v0, vcc_lo, v4, s16
	v_add_co_ci_u32_e32 v1, vcc_lo, s17, v5, vcc_lo
	global_load_dword v30, v[4:5], off
	;; [unrolled: 3-line block ×4, first 2 shown]
	v_add_co_u32 v4, vcc_lo, v0, s16
	v_add_co_ci_u32_e32 v5, vcc_lo, s17, v1, vcc_lo
	s_clause 0x1
	global_load_dword v114, v[18:19], off offset:260
	global_load_dword v113, v[18:19], off offset:656
	v_add_co_u32 v6, vcc_lo, v4, s16
	v_add_co_ci_u32_e32 v7, vcc_lo, s17, v5, vcc_lo
	global_load_dword v33, v[0:1], off
	v_add_co_u32 v0, vcc_lo, v6, s16
	v_add_co_ci_u32_e32 v1, vcc_lo, s17, v7, vcc_lo
	global_load_dword v34, v[4:5], off
	s_clause 0x1
	global_load_dword v112, v[18:19], off offset:1052
	global_load_dword v111, v[18:19], off offset:1448
	global_load_dword v35, v[6:7], off
	global_load_dword v36, v[0:1], off
	v_add_co_u32 v0, vcc_lo, v0, s16
	v_add_co_ci_u32_e32 v1, vcc_lo, s17, v1, vcc_lo
	v_add_co_u32 v16, vcc_lo, 0x1800, v22
	v_add_co_ci_u32_e32 v17, vcc_lo, 0, v23, vcc_lo
	global_load_dword v37, v[0:1], off
	s_clause 0x1
	global_load_dword v110, v[18:19], off offset:1844
	global_load_dword v109, v[16:17], off offset:192
	s_load_dwordx2 s[14:15], s[4:5], 0x38
	s_load_dwordx4 s[8:11], s[2:3], 0x0
	v_add_nc_u32_e32 v4, 0x200, v107
	v_add_nc_u32_e32 v5, 0x400, v107
	;; [unrolled: 1-line block ×4, first 2 shown]
	v_cmp_gt_u16_e32 vcc_lo, 48, v11
	s_waitcnt vmcnt(27)
	v_lshrrev_b32_e32 v38, 16, v12
	v_mul_f16_sdwa v39, v126, v12 dst_sel:DWORD dst_unused:UNUSED_PAD src0_sel:WORD_1 src1_sel:DWORD
	s_waitcnt vmcnt(26)
	v_lshrrev_b32_e32 v41, 16, v13
	v_mul_f16_sdwa v42, v125, v13 dst_sel:DWORD dst_unused:UNUSED_PAD src0_sel:WORD_1 src1_sel:DWORD
	v_mul_f16_sdwa v40, v126, v38 dst_sel:DWORD dst_unused:UNUSED_PAD src0_sel:WORD_1 src1_sel:DWORD
	v_fma_f16 v38, v126, v38, -v39
	v_fmac_f16_e32 v40, v126, v12
	v_mul_f16_sdwa v12, v125, v41 dst_sel:DWORD dst_unused:UNUSED_PAD src0_sel:WORD_1 src1_sel:DWORD
	v_fma_f16 v41, v125, v41, -v42
	s_waitcnt vmcnt(25)
	v_lshrrev_b32_e32 v39, 16, v14
	v_mul_f16_sdwa v42, v123, v14 dst_sel:DWORD dst_unused:UNUSED_PAD src0_sel:WORD_1 src1_sel:DWORD
	v_pack_b32_f16 v38, v40, v38
	v_fmac_f16_e32 v12, v125, v13
	s_waitcnt vmcnt(24)
	v_lshrrev_b32_e32 v40, 16, v15
	v_mul_f16_sdwa v13, v123, v39 dst_sel:DWORD dst_unused:UNUSED_PAD src0_sel:WORD_1 src1_sel:DWORD
	v_mul_f16_sdwa v43, v122, v15 dst_sel:DWORD dst_unused:UNUSED_PAD src0_sel:WORD_1 src1_sel:DWORD
	v_fma_f16 v39, v123, v39, -v42
	v_pack_b32_f16 v12, v12, v41
	v_fmac_f16_e32 v13, v123, v14
	v_mul_f16_sdwa v14, v122, v40 dst_sel:DWORD dst_unused:UNUSED_PAD src0_sel:WORD_1 src1_sel:DWORD
	v_fma_f16 v40, v122, v40, -v43
	s_waitcnt vmcnt(23)
	v_lshrrev_b32_e32 v41, 16, v25
	v_mul_f16_sdwa v42, v121, v25 dst_sel:DWORD dst_unused:UNUSED_PAD src0_sel:WORD_1 src1_sel:DWORD
	ds_write2_b32 v107, v38, v12 offset1:99
	v_pack_b32_f16 v12, v13, v39
	v_fmac_f16_e32 v14, v122, v15
	v_mul_f16_sdwa v13, v121, v41 dst_sel:DWORD dst_unused:UNUSED_PAD src0_sel:WORD_1 src1_sel:DWORD
	s_waitcnt vmcnt(22)
	v_lshrrev_b32_e32 v15, 16, v26
	v_mul_f16_sdwa v38, v120, v26 dst_sel:DWORD dst_unused:UNUSED_PAD src0_sel:WORD_1 src1_sel:DWORD
	v_fma_f16 v39, v121, v41, -v42
	v_pack_b32_f16 v14, v14, v40
	v_fmac_f16_e32 v13, v121, v25
	v_mul_f16_sdwa v25, v120, v15 dst_sel:DWORD dst_unused:UNUSED_PAD src0_sel:WORD_1 src1_sel:DWORD
	v_fma_f16 v15, v120, v15, -v38
	s_waitcnt vmcnt(20)
	v_lshrrev_b32_e32 v38, 16, v27
	v_mul_f16_sdwa v40, v119, v27 dst_sel:DWORD dst_unused:UNUSED_PAD src0_sel:WORD_1 src1_sel:DWORD
	ds_write2_b32 v4, v12, v14 offset0:70 offset1:169
	v_pack_b32_f16 v12, v13, v39
	v_fmac_f16_e32 v25, v120, v26
	v_mul_f16_sdwa v13, v119, v38 dst_sel:DWORD dst_unused:UNUSED_PAD src0_sel:WORD_1 src1_sel:DWORD
	s_waitcnt vmcnt(19)
	v_lshrrev_b32_e32 v14, 16, v28
	s_waitcnt vmcnt(18)
	v_mul_f16_sdwa v26, v118, v28 dst_sel:DWORD dst_unused:UNUSED_PAD src0_sel:WORD_1 src1_sel:DWORD
	v_fma_f16 v38, v119, v38, -v40
	v_pack_b32_f16 v15, v25, v15
	v_fmac_f16_e32 v13, v119, v27
	v_mul_f16_sdwa v25, v118, v14 dst_sel:DWORD dst_unused:UNUSED_PAD src0_sel:WORD_1 src1_sel:DWORD
	v_fma_f16 v14, v118, v14, -v26
	s_waitcnt vmcnt(14)
	v_lshrrev_b32_e32 v26, 16, v29
	v_mul_f16_sdwa v27, v117, v29 dst_sel:DWORD dst_unused:UNUSED_PAD src0_sel:WORD_1 src1_sel:DWORD
	ds_write2_b32 v5, v12, v15 offset0:140 offset1:239
	v_pack_b32_f16 v12, v13, v38
	v_fmac_f16_e32 v25, v118, v28
	v_mul_f16_sdwa v13, v117, v26 dst_sel:DWORD dst_unused:UNUSED_PAD src0_sel:WORD_1 src1_sel:DWORD
	s_waitcnt vmcnt(13)
	v_lshrrev_b32_e32 v15, 16, v30
	v_mul_f16_sdwa v28, v116, v30 dst_sel:DWORD dst_unused:UNUSED_PAD src0_sel:WORD_1 src1_sel:DWORD
	v_fma_f16 v26, v117, v26, -v27
	v_pack_b32_f16 v14, v25, v14
	v_fmac_f16_e32 v13, v117, v29
	v_mul_f16_sdwa v25, v116, v15 dst_sel:DWORD dst_unused:UNUSED_PAD src0_sel:WORD_1 src1_sel:DWORD
	s_waitcnt vmcnt(12)
	v_lshrrev_b32_e32 v27, 16, v31
	v_fma_f16 v15, v116, v15, -v28
	v_mul_f16_sdwa v28, v115, v31 dst_sel:DWORD dst_unused:UNUSED_PAD src0_sel:WORD_1 src1_sel:DWORD
	ds_write2_b32 v6, v12, v14 offset0:82 offset1:181
	v_pack_b32_f16 v12, v13, v26
	v_fmac_f16_e32 v25, v116, v30
	v_mul_f16_sdwa v13, v115, v27 dst_sel:DWORD dst_unused:UNUSED_PAD src0_sel:WORD_1 src1_sel:DWORD
	s_waitcnt vmcnt(11)
	v_lshrrev_b32_e32 v14, 16, v32
	s_waitcnt vmcnt(10)
	v_mul_f16_sdwa v26, v114, v32 dst_sel:DWORD dst_unused:UNUSED_PAD src0_sel:WORD_1 src1_sel:DWORD
	v_fma_f16 v27, v115, v27, -v28
	v_pack_b32_f16 v15, v25, v15
	v_fmac_f16_e32 v13, v115, v31
	v_mul_f16_sdwa v25, v114, v14 dst_sel:DWORD dst_unused:UNUSED_PAD src0_sel:WORD_1 src1_sel:DWORD
	v_fma_f16 v14, v114, v14, -v26
	s_waitcnt vmcnt(8)
	v_lshrrev_b32_e32 v26, 16, v33
	v_mul_f16_sdwa v28, v113, v33 dst_sel:DWORD dst_unused:UNUSED_PAD src0_sel:WORD_1 src1_sel:DWORD
	ds_write2_b32 v7, v12, v15 offset0:24 offset1:123
	v_pack_b32_f16 v12, v13, v27
	v_fmac_f16_e32 v25, v114, v32
	s_waitcnt vmcnt(7)
	v_lshrrev_b32_e32 v13, 16, v34
	s_waitcnt vmcnt(6)
	v_mul_f16_sdwa v27, v112, v34 dst_sel:DWORD dst_unused:UNUSED_PAD src0_sel:WORD_1 src1_sel:DWORD
	v_mul_f16_sdwa v15, v113, v26 dst_sel:DWORD dst_unused:UNUSED_PAD src0_sel:WORD_1 src1_sel:DWORD
	v_fma_f16 v26, v113, v26, -v28
	v_pack_b32_f16 v14, v25, v14
	v_mul_f16_sdwa v25, v112, v13 dst_sel:DWORD dst_unused:UNUSED_PAD src0_sel:WORD_1 src1_sel:DWORD
	s_waitcnt vmcnt(4)
	v_lshrrev_b32_e32 v28, 16, v35
	v_fma_f16 v13, v112, v13, -v27
	v_mul_f16_sdwa v27, v111, v35 dst_sel:DWORD dst_unused:UNUSED_PAD src0_sel:WORD_1 src1_sel:DWORD
	s_waitcnt vmcnt(3)
	v_lshrrev_b32_e32 v29, 16, v36
	s_waitcnt vmcnt(2)
	v_lshrrev_b32_e32 v31, 16, v37
	v_mul_f16_sdwa v30, v111, v28 dst_sel:DWORD dst_unused:UNUSED_PAD src0_sel:WORD_1 src1_sel:DWORD
	v_fmac_f16_e32 v15, v113, v33
	v_fma_f16 v27, v111, v28, -v27
	s_waitcnt vmcnt(1)
	v_mul_f16_sdwa v28, v110, v36 dst_sel:DWORD dst_unused:UNUSED_PAD src0_sel:WORD_1 src1_sel:DWORD
	v_mul_f16_sdwa v32, v110, v29 dst_sel:DWORD dst_unused:UNUSED_PAD src0_sel:WORD_1 src1_sel:DWORD
	v_fmac_f16_e32 v25, v112, v34
	s_waitcnt vmcnt(0)
	v_mul_f16_sdwa v33, v109, v37 dst_sel:DWORD dst_unused:UNUSED_PAD src0_sel:WORD_1 src1_sel:DWORD
	v_mul_f16_sdwa v34, v109, v31 dst_sel:DWORD dst_unused:UNUSED_PAD src0_sel:WORD_1 src1_sel:DWORD
	v_fmac_f16_e32 v30, v111, v35
	v_fma_f16 v28, v110, v29, -v28
	v_fmac_f16_e32 v32, v110, v36
	v_fma_f16 v29, v109, v31, -v33
	v_fmac_f16_e32 v34, v109, v37
	v_pack_b32_f16 v15, v15, v26
	v_pack_b32_f16 v13, v25, v13
	;; [unrolled: 1-line block ×5, first 2 shown]
	ds_write2_b32 v8, v12, v14 offset0:94 offset1:193
	ds_write2_b32 v9, v15, v13 offset0:36 offset1:135
	;; [unrolled: 1-line block ×3, first 2 shown]
	ds_write_b32 v107, v27 offset:6336
	s_and_saveexec_b32 s1, vcc_lo
	s_cbranch_execz .LBB0_3
; %bb.2:
	v_mad_u64_u32 v[0:1], null, 0xffffe80c, s12, v[0:1]
	s_mul_i32 s0, s13, 0xffffe80c
	v_mad_u64_u32 v[11:12], null, s12, v108, 0
	s_sub_i32 s0, s0, s12
	v_add_nc_u32_e32 v55, 0x1000, v107
	v_add_nc_u32_e32 v1, s0, v1
	v_add_co_u32 v13, s0, v0, s16
	v_add_co_ci_u32_e64 v14, s0, s17, v1, s0
	v_add_co_u32 v25, s0, v13, s16
	v_mad_u64_u32 v[29:30], null, s13, v108, v[12:13]
	v_add_co_ci_u32_e64 v26, s0, s17, v14, s0
	v_add_co_u32 v27, s0, v25, s16
	global_load_dword v15, v[0:1], off
	v_add_co_ci_u32_e64 v28, s0, s17, v26, s0
	v_add_co_u32 v0, s0, v27, s16
	v_mov_b32_e32 v12, v29
	v_add_co_ci_u32_e64 v1, s0, s17, v28, s0
	global_load_dword v30, v[13:14], off
	global_load_dword v31, v[25:26], off
	;; [unrolled: 1-line block ×4, first 2 shown]
	s_clause 0x4
	global_load_dword v32, v[22:23], off offset:204
	global_load_dword v33, v[22:23], off offset:600
	;; [unrolled: 1-line block ×5, first 2 shown]
	v_add_co_u32 v0, s0, v0, s16
	v_add_co_ci_u32_e64 v1, s0, s17, v1, s0
	v_lshlrev_b64 v[11:12], 2, v[11:12]
	v_add_co_u32 v13, s0, v0, s16
	v_add_co_ci_u32_e64 v14, s0, s17, v1, s0
	v_add_co_u32 v2, s0, v2, v11
	v_add_co_ci_u32_e64 v3, s0, v3, v12, s0
	v_lshlrev_b32_e32 v11, 2, v108
	s_clause 0x5
	global_load_dword v29, v[20:21], off offset:532
	global_load_dword v37, v[20:21], off offset:928
	;; [unrolled: 1-line block ×6, first 2 shown]
	global_load_dword v42, v[2:3], off
	global_load_dword v43, v11, s[6:7]
	v_add_co_u32 v2, s0, v13, s16
	v_add_co_ci_u32_e64 v3, s0, s17, v14, s0
	global_load_dword v44, v[0:1], off
	v_add_co_u32 v0, s0, v2, s16
	v_add_co_ci_u32_e64 v1, s0, s17, v3, s0
	global_load_dword v46, v[13:14], off
	v_add_co_u32 v11, s0, v0, s16
	v_add_co_ci_u32_e64 v12, s0, s17, v1, s0
	global_load_dword v45, v[20:21], off offset:136
	v_add_co_u32 v13, s0, v11, s16
	v_add_co_ci_u32_e64 v14, s0, s17, v12, s0
	global_load_dword v47, v[2:3], off
	v_add_co_u32 v2, s0, v13, s16
	v_add_co_ci_u32_e64 v3, s0, s17, v14, s0
	global_load_dword v48, v[0:1], off
	;; [unrolled: 3-line block ×5, first 2 shown]
	global_load_dword v25, v[25:26], off
	v_add_nc_u32_e32 v26, 0x600, v107
	v_mad_u64_u32 v[13:14], null, 0x318, s12, v[11:12]
	v_mov_b32_e32 v2, v14
	v_mad_u64_u32 v[2:3], null, 0x318, s13, v[2:3]
	global_load_dword v3, v[18:19], off offset:860
	global_load_dword v0, v[0:1], off
	global_load_dword v1, v[18:19], off offset:1256
	v_mov_b32_e32 v14, v2
	global_load_dword v2, v[11:12], off
	global_load_dword v11, v[18:19], off offset:1652
	global_load_dword v12, v[13:14], off
	global_load_dword v13, v[16:17], off offset:396
	s_waitcnt vmcnt(33)
	v_lshrrev_b32_e32 v14, 16, v15
	s_waitcnt vmcnt(32)
	v_lshrrev_b32_e32 v54, 16, v30
	s_waitcnt vmcnt(28)
	v_mul_f16_sdwa v52, v32, v15 dst_sel:DWORD dst_unused:UNUSED_PAD src0_sel:WORD_1 src1_sel:DWORD
	v_mul_f16_sdwa v53, v32, v14 dst_sel:DWORD dst_unused:UNUSED_PAD src0_sel:WORD_1 src1_sel:DWORD
	s_waitcnt vmcnt(27)
	v_mul_f16_sdwa v56, v33, v30 dst_sel:DWORD dst_unused:UNUSED_PAD src0_sel:WORD_1 src1_sel:DWORD
	v_fma_f16 v14, v32, v14, -v52
	v_fmac_f16_e32 v53, v32, v15
	v_mul_f16_sdwa v15, v33, v54 dst_sel:DWORD dst_unused:UNUSED_PAD src0_sel:WORD_1 src1_sel:DWORD
	v_lshrrev_b32_e32 v32, 16, v31
	v_fma_f16 v52, v33, v54, -v56
	s_waitcnt vmcnt(26)
	v_mul_f16_sdwa v54, v34, v31 dst_sel:DWORD dst_unused:UNUSED_PAD src0_sel:WORD_1 src1_sel:DWORD
	v_pack_b32_f16 v14, v53, v14
	v_fmac_f16_e32 v15, v33, v30
	v_mul_f16_sdwa v30, v34, v32 dst_sel:DWORD dst_unused:UNUSED_PAD src0_sel:WORD_1 src1_sel:DWORD
	v_lshrrev_b32_e32 v33, 16, v27
	s_waitcnt vmcnt(25)
	v_mul_f16_sdwa v53, v35, v27 dst_sel:DWORD dst_unused:UNUSED_PAD src0_sel:WORD_1 src1_sel:DWORD
	v_fma_f16 v32, v34, v32, -v54
	v_pack_b32_f16 v15, v15, v52
	v_fmac_f16_e32 v30, v34, v31
	v_mul_f16_sdwa v31, v35, v33 dst_sel:DWORD dst_unused:UNUSED_PAD src0_sel:WORD_1 src1_sel:DWORD
	v_lshrrev_b32_e32 v34, 16, v28
	v_fma_f16 v33, v35, v33, -v53
	s_waitcnt vmcnt(24)
	v_mul_f16_sdwa v52, v36, v28 dst_sel:DWORD dst_unused:UNUSED_PAD src0_sel:WORD_1 src1_sel:DWORD
	ds_write2_b32 v107, v14, v15 offset0:51 offset1:150
	v_pack_b32_f16 v14, v30, v32
	v_fmac_f16_e32 v31, v35, v27
	v_mul_f16_sdwa v15, v36, v34 dst_sel:DWORD dst_unused:UNUSED_PAD src0_sel:WORD_1 src1_sel:DWORD
	s_waitcnt vmcnt(15)
	v_lshrrev_b32_e32 v30, 16, v44
	v_fma_f16 v27, v36, v34, -v52
	v_lshrrev_b32_e32 v53, 16, v42
	v_pack_b32_f16 v31, v31, v33
	v_fmac_f16_e32 v15, v36, v28
	s_waitcnt vmcnt(14)
	v_mul_f16_sdwa v33, v29, v46 dst_sel:DWORD dst_unused:UNUSED_PAD src0_sel:WORD_1 src1_sel:DWORD
	v_mul_f16_sdwa v54, v43, v42 dst_sel:DWORD dst_unused:UNUSED_PAD src0_sel:WORD_1 src1_sel:DWORD
	;; [unrolled: 1-line block ×3, first 2 shown]
	s_waitcnt vmcnt(13)
	v_mul_f16_sdwa v32, v45, v44 dst_sel:DWORD dst_unused:UNUSED_PAD src0_sel:WORD_1 src1_sel:DWORD
	v_mul_f16_sdwa v28, v45, v30 dst_sel:DWORD dst_unused:UNUSED_PAD src0_sel:WORD_1 src1_sel:DWORD
	ds_write2_b32 v4, v14, v31 offset0:121 offset1:220
	v_pack_b32_f16 v14, v15, v27
	v_fma_f16 v35, v43, v53, -v54
	v_fma_f16 v30, v45, v30, -v32
	v_lshrrev_b32_e32 v32, 16, v46
	v_fmac_f16_e32 v28, v45, v44
	s_waitcnt vmcnt(12)
	v_lshrrev_b32_e32 v27, 16, v47
	v_mul_f16_sdwa v31, v37, v47 dst_sel:DWORD dst_unused:UNUSED_PAD src0_sel:WORD_1 src1_sel:DWORD
	v_fmac_f16_e32 v34, v43, v42
	v_mul_f16_sdwa v15, v29, v32 dst_sel:DWORD dst_unused:UNUSED_PAD src0_sel:WORD_1 src1_sel:DWORD
	v_fma_f16 v32, v29, v32, -v33
	v_pack_b32_f16 v28, v28, v30
	s_waitcnt vmcnt(11)
	v_lshrrev_b32_e32 v30, 16, v48
	v_fmac_f16_e32 v15, v29, v46
	v_mul_f16_sdwa v29, v37, v27 dst_sel:DWORD dst_unused:UNUSED_PAD src0_sel:WORD_1 src1_sel:DWORD
	v_fma_f16 v27, v37, v27, -v31
	v_mul_f16_sdwa v31, v38, v48 dst_sel:DWORD dst_unused:UNUSED_PAD src0_sel:WORD_1 src1_sel:DWORD
	ds_write2_b32 v26, v14, v28 offset0:63 offset1:162
	v_pack_b32_f16 v14, v15, v32
	v_fmac_f16_e32 v29, v37, v47
	v_mul_f16_sdwa v15, v38, v30 dst_sel:DWORD dst_unused:UNUSED_PAD src0_sel:WORD_1 src1_sel:DWORD
	s_waitcnt vmcnt(10)
	v_lshrrev_b32_e32 v26, 16, v49
	v_mul_f16_sdwa v28, v39, v49 dst_sel:DWORD dst_unused:UNUSED_PAD src0_sel:WORD_1 src1_sel:DWORD
	v_fma_f16 v30, v38, v30, -v31
	v_pack_b32_f16 v27, v29, v27
	v_fmac_f16_e32 v15, v38, v48
	v_mul_f16_sdwa v29, v39, v26 dst_sel:DWORD dst_unused:UNUSED_PAD src0_sel:WORD_1 src1_sel:DWORD
	v_fma_f16 v26, v39, v26, -v28
	s_waitcnt vmcnt(9)
	v_lshrrev_b32_e32 v28, 16, v50
	v_mul_f16_sdwa v31, v40, v50 dst_sel:DWORD dst_unused:UNUSED_PAD src0_sel:WORD_1 src1_sel:DWORD
	ds_write2_b32 v6, v14, v27 offset0:133 offset1:232
	v_pack_b32_f16 v14, v15, v30
	v_fmac_f16_e32 v29, v39, v49
	v_mul_f16_sdwa v15, v40, v28 dst_sel:DWORD dst_unused:UNUSED_PAD src0_sel:WORD_1 src1_sel:DWORD
	s_waitcnt vmcnt(8)
	v_lshrrev_b32_e32 v27, 16, v51
	v_mul_f16_sdwa v30, v41, v51 dst_sel:DWORD dst_unused:UNUSED_PAD src0_sel:WORD_1 src1_sel:DWORD
	v_fma_f16 v28, v40, v28, -v31
	v_pack_b32_f16 v26, v29, v26
	v_fmac_f16_e32 v15, v40, v50
	v_mul_f16_sdwa v29, v41, v27 dst_sel:DWORD dst_unused:UNUSED_PAD src0_sel:WORD_1 src1_sel:DWORD
	v_fma_f16 v27, v41, v27, -v30
	s_waitcnt vmcnt(7)
	v_lshrrev_b32_e32 v30, 16, v25
	s_waitcnt vmcnt(6)
	v_mul_f16_sdwa v31, v3, v25 dst_sel:DWORD dst_unused:UNUSED_PAD src0_sel:WORD_1 src1_sel:DWORD
	ds_write2_b32 v7, v14, v26 offset0:75 offset1:174
	v_pack_b32_f16 v14, v15, v28
	v_fmac_f16_e32 v29, v41, v51
	v_mul_f16_sdwa v15, v3, v30 dst_sel:DWORD dst_unused:UNUSED_PAD src0_sel:WORD_1 src1_sel:DWORD
	s_waitcnt vmcnt(5)
	v_lshrrev_b32_e32 v28, 16, v0
	v_fma_f16 v26, v3, v30, -v31
	s_waitcnt vmcnt(4)
	v_mul_f16_sdwa v30, v1, v0 dst_sel:DWORD dst_unused:UNUSED_PAD src0_sel:WORD_1 src1_sel:DWORD
	v_pack_b32_f16 v27, v29, v27
	v_fmac_f16_e32 v15, v3, v25
	s_waitcnt vmcnt(3)
	v_lshrrev_b32_e32 v3, 16, v2
	v_mul_f16_sdwa v25, v1, v28 dst_sel:DWORD dst_unused:UNUSED_PAD src0_sel:WORD_1 src1_sel:DWORD
	s_waitcnt vmcnt(2)
	v_mul_f16_sdwa v29, v11, v2 dst_sel:DWORD dst_unused:UNUSED_PAD src0_sel:WORD_1 src1_sel:DWORD
	s_waitcnt vmcnt(1)
	v_lshrrev_b32_e32 v31, 16, v12
	v_fma_f16 v28, v1, v28, -v30
	v_mul_f16_sdwa v30, v11, v3 dst_sel:DWORD dst_unused:UNUSED_PAD src0_sel:WORD_1 src1_sel:DWORD
	v_fmac_f16_e32 v25, v1, v0
	v_fma_f16 v0, v11, v3, -v29
	s_waitcnt vmcnt(0)
	v_mul_f16_sdwa v1, v13, v31 dst_sel:DWORD dst_unused:UNUSED_PAD src0_sel:WORD_1 src1_sel:DWORD
	v_mul_f16_sdwa v3, v13, v12 dst_sel:DWORD dst_unused:UNUSED_PAD src0_sel:WORD_1 src1_sel:DWORD
	v_fmac_f16_e32 v30, v11, v2
	v_pack_b32_f16 v2, v15, v26
	v_pack_b32_f16 v11, v25, v28
	v_fmac_f16_e32 v1, v13, v12
	v_fma_f16 v3, v13, v31, -v3
	v_pack_b32_f16 v0, v30, v0
	v_pack_b32_f16 v12, v34, v35
	v_add_nc_u32_e32 v13, 0x1600, v107
	v_pack_b32_f16 v1, v1, v3
	ds_write2_b32 v55, v14, v27 offset0:17 offset1:116
	ds_write2_b32 v9, v2, v11 offset0:87 offset1:186
	ds_write2_b32 v13, v0, v12 offset0:29 offset1:128
	ds_write_b32 v107, v1 offset:6540
.LBB0_3:
	s_or_b32 exec_lo, exec_lo, s1
	s_waitcnt lgkmcnt(0)
	s_barrier
	buffer_gl0_inv
	ds_read2_b32 v[25:26], v107 offset1:99
	ds_read2_b32 v[39:40], v4 offset0:70 offset1:169
	ds_read2_b32 v[35:36], v5 offset0:140 offset1:239
	;; [unrolled: 1-line block ×7, first 2 shown]
	ds_read_b32 v52, v107 offset:6336
	s_load_dwordx2 s[2:3], s[4:5], 0x8
	v_mov_b32_e32 v4, 0
                                        ; kill: def $vgpr0 killed $sgpr0 killed $exec
                                        ; implicit-def: $vgpr41
                                        ; implicit-def: $vgpr1
                                        ; implicit-def: $vgpr3
                                        ; implicit-def: $vgpr7
                                        ; implicit-def: $vgpr9
                                        ; implicit-def: $vgpr11
                                        ; implicit-def: $vgpr13
                                        ; implicit-def: $vgpr15
                                        ; implicit-def: $vgpr50
	s_and_saveexec_b32 s0, vcc_lo
	s_cbranch_execz .LBB0_5
; %bb.4:
	v_add_nc_u32_e32 v0, 0x200, v107
	v_add_nc_u32_e32 v1, 0x600, v107
	v_add_nc_u32_e32 v2, 0x800, v107
	ds_read2_b32 v[4:5], v107 offset0:51 offset1:150
	v_add_nc_u32_e32 v3, 0x1200, v107
	ds_read2_b32 v[14:15], v0 offset0:121 offset1:220
	ds_read2_b32 v[12:13], v1 offset0:63 offset1:162
	v_add_nc_u32_e32 v0, 0xc00, v107
	v_add_nc_u32_e32 v1, 0x1000, v107
	;; [unrolled: 1-line block ×3, first 2 shown]
	ds_read2_b32 v[10:11], v2 offset0:133 offset1:232
	ds_read2_b32 v[8:9], v0 offset0:75 offset1:174
	;; [unrolled: 1-line block ×5, first 2 shown]
	ds_read_b32 v41, v107 offset:6540
	s_waitcnt lgkmcnt(0)
	v_alignbit_b32 v50, v14, v14, 16
.LBB0_5:
	s_or_b32 exec_lo, exec_lo, s0
	s_waitcnt lgkmcnt(0)
	v_pk_add_f16 v14, v25, v26
	v_mov_b32_e32 v48, 0xb5c8
	v_pk_add_f16 v53, v26, v52 neg_lo:[0,1] neg_hi:[0,1]
	v_mov_b32_e32 v42, 0xb964
	v_pk_add_f16 v55, v52, v26
	v_pk_add_f16 v14, v14, v39
	v_pk_add_f16 v26, v39, v28 neg_lo:[0,1] neg_hi:[0,1]
	v_mul_f16_sdwa v56, v53, v48 dst_sel:DWORD dst_unused:UNUSED_PAD src0_sel:WORD_1 src1_sel:DWORD
	v_mov_b32_e32 v46, 0xbb29
	v_pk_add_f16 v51, v28, v39
	v_pk_add_f16 v14, v14, v40
	v_pk_add_f16 v39, v40, v27 neg_lo:[0,1] neg_hi:[0,1]
	v_pk_add_f16 v60, v38, v35
	v_pk_add_f16 v58, v35, v38 neg_lo:[0,1] neg_hi:[0,1]
	v_mul_f16_sdwa v88, v26, v42 dst_sel:DWORD dst_unused:UNUSED_PAD src0_sel:WORD_1 src1_sel:DWORD
	v_pk_add_f16 v14, v14, v35
	v_pk_mul_f16 v35, 0x3b7639e9, v55
	v_fma_f16 v66, v55, 0x3b76, -v56
	v_pk_add_f16 v54, v27, v40
	v_lshrrev_b32_e32 v57, 16, v55
	v_pk_add_f16 v14, v14, v36
	v_mul_f16_e32 v59, 0xb964, v53
	v_pk_mul_f16 v61, 0x39e92de8, v51
	v_mul_f16_sdwa v82, v39, v46 dst_sel:DWORD dst_unused:UNUSED_PAD src0_sel:WORD_1 src1_sel:DWORD
	v_pk_fma_f16 v40, 0xb964b5c8, v53, v35 op_sel:[0,0,1] op_sel_hi:[1,1,0] neg_lo:[0,1,0] neg_hi:[0,1,0]
	v_pk_add_f16 v14, v14, v31
	v_pk_fma_f16 v68, 0xb964b5c8, v53, v35 op_sel:[0,0,1] op_sel_hi:[1,1,0]
	v_fma_f16 v67, v51, 0x39e9, -v88
	v_add_f16_e32 v66, v25, v66
	v_lshrrev_b32_e32 v84, 16, v51
	v_pk_add_f16 v14, v14, v32
	v_mul_f16_e32 v90, 0xbbf7, v26
	v_pk_mul_f16 v62, 0x3722b8d2, v54
	v_fmamk_f16 v35, v57, 0x39e9, v59
	v_pk_fma_f16 v65, 0xbbf7b964, v26, v61 op_sel:[0,0,1] op_sel_hi:[1,1,0] neg_lo:[0,1,0] neg_hi:[0,1,0]
	v_pk_add_f16 v14, v14, v29
	v_pk_fma_f16 v94, 0xbbf7b964, v26, v61 op_sel:[0,0,1] op_sel_hi:[1,1,0]
	v_fma_f16 v69, v54, 0x3722, -v82
	v_bfi_b32 v71, 0xffff, v68, v40
	v_add_f16_e32 v66, v67, v66
	v_pk_add_f16 v14, v14, v30
	v_pk_mul_f16 v63, 0x2de8bbdd, v60
	v_fmamk_f16 v61, v84, 0x2de8, v90
	v_pk_fma_f16 v64, 0xba62bb29, v39, v62 op_sel:[0,0,1] op_sel_hi:[1,1,0] neg_lo:[0,1,0] neg_hi:[0,1,0]
	v_pk_fma_f16 v87, 0xba62bb29, v39, v62 op_sel:[0,0,1] op_sel_hi:[1,1,0]
	v_pk_add_f16 v14, v14, v33
	v_add_f16_sdwa v35, v25, v35 dst_sel:DWORD dst_unused:UNUSED_PAD src0_sel:WORD_1 src1_sel:DWORD
	v_bfi_b32 v72, 0xffff, v94, v65
	v_pk_add_f16 v71, v25, v71 op_sel:[1,0] op_sel_hi:[0,1]
	v_mov_b32_e32 v43, 0xbbf7
	v_pk_add_f16 v14, v14, v34
	v_lshrrev_b32_e32 v81, 16, v54
	v_mul_f16_e32 v83, 0xba62, v39
	v_add_f16_e32 v35, v61, v35
	v_pk_add_f16 v61, v72, v71
	v_pk_add_f16 v14, v14, v37
	v_pk_fma_f16 v67, 0xb1e1bbf7, v58, v63 op_sel:[0,0,1] op_sel_hi:[1,1,0] neg_lo:[0,1,0] neg_hi:[0,1,0]
	v_pk_fma_f16 v100, 0xb1e1bbf7, v58, v63 op_sel:[0,0,1] op_sel_hi:[1,1,0]
	v_mov_b32_e32 v49, 0xbbb2
	v_mul_f16_sdwa v80, v58, v43 dst_sel:DWORD dst_unused:UNUSED_PAD src0_sel:WORD_1 src1_sel:DWORD
	v_pk_add_f16 v14, v14, v38
	v_bfi_b32 v38, 0xffff, v87, v64
	v_fmamk_f16 v62, v81, 0xb8d2, v83
	v_lshrrev_b32_e32 v91, 16, v60
	v_mul_f16_e32 v103, 0xb1e1, v58
	v_pk_add_f16 v27, v14, v27
	v_add_f16_e32 v14, v69, v66
	v_pk_add_f16 v69, v37, v36
	v_pk_add_f16 v66, v36, v37 neg_lo:[0,1] neg_hi:[0,1]
	v_pk_add_f16 v38, v38, v61
	v_bfi_b32 v37, 0xffff, v100, v67
	v_pk_add_f16 v78, v34, v31
	v_pk_mul_f16 v36, 0xb461bacd, v69
	v_mov_b32_e32 v44, 0xba62
	v_fma_f16 v70, v60, 0x2de8, -v80
	v_add_f16_e32 v35, v62, v35
	v_fmamk_f16 v61, v91, 0xbbdd, v103
	v_pk_fma_f16 v79, 0x3836bbb2, v66, v36 op_sel:[0,0,1] op_sel_hi:[1,1,0] neg_lo:[0,1,0] neg_hi:[0,1,0]
	v_pk_fma_f16 v93, 0x3836bbb2, v66, v36 op_sel:[0,0,1] op_sel_hi:[1,1,0]
	v_mul_f16_sdwa v95, v66, v49 dst_sel:DWORD dst_unused:UNUSED_PAD src0_sel:WORD_1 src1_sel:DWORD
	v_pk_add_f16 v36, v37, v38
	v_lshrrev_b32_e32 v129, 16, v69
	v_mul_f16_e32 v143, 0x3836, v66
	v_bfi_b32 v38, 0xffff, v93, v79
	v_pk_add_f16 v77, v31, v34 neg_lo:[0,1] neg_hi:[0,1]
	v_pk_mul_f16 v31, 0xb8d2b461, v78
	v_pk_add_f16 v86, v33, v32
	v_mov_b32_e32 v47, 0xb836
	v_add_f16_e32 v14, v70, v14
	v_add_f16_e32 v35, v61, v35
	v_fma_f16 v37, v69, 0xb461, -v95
	v_pk_add_f16 v34, v38, v36
	v_fmamk_f16 v36, v129, 0xbacd, v143
	v_mul_f16_sdwa v132, v77, v44 dst_sel:DWORD dst_unused:UNUSED_PAD src0_sel:WORD_1 src1_sel:DWORD
	v_pk_fma_f16 v89, 0x3bb2ba62, v77, v31 op_sel:[0,0,1] op_sel_hi:[1,1,0] neg_lo:[0,1,0] neg_hi:[0,1,0]
	v_pk_fma_f16 v133, 0x3bb2ba62, v77, v31 op_sel:[0,0,1] op_sel_hi:[1,1,0]
	v_lshrrev_b32_e32 v104, 16, v78
	v_mul_f16_e32 v137, 0x3bb2, v77
	v_pk_add_f16 v85, v32, v33 neg_lo:[0,1] neg_hi:[0,1]
	v_pk_mul_f16 v32, 0xbacd3722, v86
	v_pk_add_f16 v98, v30, v29
	v_mov_b32_e32 v45, 0xb1e1
	v_add_f16_e32 v14, v37, v14
	v_add_f16_e32 v31, v36, v35
	v_fma_f16 v35, v78, 0xb8d2, -v132
	v_bfi_b32 v36, 0xffff, v133, v89
	v_fmamk_f16 v37, v104, 0xb461, v137
	v_mul_f16_sdwa v148, v85, v47 dst_sel:DWORD dst_unused:UNUSED_PAD src0_sel:WORD_1 src1_sel:DWORD
	v_pk_fma_f16 v136, 0x3b29b836, v85, v32 op_sel:[0,0,1] op_sel_hi:[1,1,0] neg_lo:[0,1,0] neg_hi:[0,1,0]
	v_pk_fma_f16 v92, 0x3b29b836, v85, v32 op_sel:[0,0,1] op_sel_hi:[1,1,0]
	v_lshrrev_b32_e32 v150, 16, v86
	v_mul_f16_e32 v154, 0x3b29, v85
	v_pk_add_f16 v97, v29, v30 neg_lo:[0,1] neg_hi:[0,1]
	v_pk_mul_f16 v99, 0xbbdd3b76, v98
	v_add_f16_e32 v14, v35, v14
	v_pk_add_f16 v33, v36, v34
	v_add_f16_e32 v31, v37, v31
	v_fma_f16 v29, v86, 0xbacd, -v148
	v_bfi_b32 v30, 0xffff, v92, v136
	v_fmamk_f16 v32, v150, 0x3722, v154
	v_mul_f16_sdwa v151, v97, v45 dst_sel:DWORD dst_unused:UNUSED_PAD src0_sel:WORD_1 src1_sel:DWORD
	v_pk_fma_f16 v152, 0x35c8b1e1, v97, v99 op_sel:[0,0,1] op_sel_hi:[1,1,0] neg_lo:[0,1,0] neg_hi:[0,1,0]
	v_pk_fma_f16 v34, 0x35c8b1e1, v97, v99 op_sel:[0,0,1] op_sel_hi:[1,1,0]
	v_lshrrev_b32_e32 v140, 16, v98
	v_mul_f16_e32 v153, 0x35c8, v97
	v_add_f16_e32 v29, v29, v14
	v_pk_add_f16 v30, v30, v33
	v_add_f16_e32 v31, v32, v31
	v_bfi_b32 v32, 0xffff, v34, v152
	v_fmamk_f16 v33, v140, 0x3b76, v153
	v_fma_f16 v34, v98, 0xbbdd, -v151
	v_pk_add_f16 v27, v27, v28
	v_mul_f16_sdwa v28, v53, v46 dst_sel:DWORD dst_unused:UNUSED_PAD src0_sel:WORD_1 src1_sel:DWORD
	v_pk_add_f16 v30, v32, v30
	v_add_f16_e32 v31, v33, v31
	v_add_f16_e32 v29, v34, v29
	v_mul_lo_u16 v35, v124, 17
	v_mov_b32_e32 v14, 2
	v_fma_f16 v32, v55, 0x3722, -v28
	v_alignbit_b32 v31, v31, v30, 16
	v_pack_b32_f16 v29, v29, v30
	v_mul_f16_e32 v30, 0xbb29, v53
	v_mul_f16_sdwa v177, v26, v44 dst_sel:DWORD dst_unused:UNUSED_PAD src0_sel:WORD_1 src1_sel:DWORD
	v_mul_f16_e32 v178, 0xba62, v26
	v_lshlrev_b32_sdwa v130, v14, v35 dst_sel:DWORD dst_unused:UNUSED_PAD src0_sel:DWORD src1_sel:WORD_0
	v_add_f16_e32 v32, v25, v32
	v_fmamk_f16 v33, v57, 0x3722, v30
	v_fma_f16 v34, v51, 0xb8d2, -v177
	v_mul_f16_sdwa v36, v53, v43 dst_sel:DWORD dst_unused:UNUSED_PAD src0_sel:WORD_1 src1_sel:DWORD
	v_fmamk_f16 v35, v84, 0xb8d2, v178
	v_mul_f16_e32 v37, 0xbbf7, v53
	v_add_f16_sdwa v33, v25, v33 dst_sel:DWORD dst_unused:UNUSED_PAD src0_sel:WORD_1 src1_sel:DWORD
	v_add_f16_e32 v32, v34, v32
	v_fma_f16 v34, v55, 0x2de8, -v36
	v_mul_f16_sdwa v181, v26, v45 dst_sel:DWORD dst_unused:UNUSED_PAD src0_sel:WORD_1 src1_sel:DWORD
	v_mov_b32_e32 v38, 0x31e1
	v_add_f16_e32 v33, v35, v33
	v_fmamk_f16 v35, v57, 0x2de8, v37
	v_add_f16_e32 v34, v25, v34
	v_fma_f16 v61, v51, 0xbbdd, -v181
	v_mul_f16_e32 v183, 0xb1e1, v26
	v_mul_f16_sdwa v174, v39, v38 dst_sel:DWORD dst_unused:UNUSED_PAD src0_sel:WORD_1 src1_sel:DWORD
	v_add_f16_sdwa v62, v25, v35 dst_sel:DWORD dst_unused:UNUSED_PAD src0_sel:WORD_1 src1_sel:DWORD
	v_mov_b32_e32 v35, 0x3bb2
	v_add_f16_e32 v34, v61, v34
	v_fmamk_f16 v38, v84, 0xbbdd, v183
	v_fma_f16 v61, v54, 0xbbdd, -v174
	v_mul_f16_e32 v179, 0x31e1, v39
	v_mul_f16_sdwa v176, v39, v35 dst_sel:DWORD dst_unused:UNUSED_PAD src0_sel:WORD_1 src1_sel:DWORD
	v_mul_f16_e32 v180, 0x3bb2, v39
	v_add_f16_e32 v38, v38, v62
	v_add_f16_e32 v62, v61, v32
	v_fmamk_f16 v63, v81, 0xbbdd, v179
	v_fma_f16 v32, v54, 0xb461, -v176
	v_mul_f16_sdwa v171, v58, v35 dst_sel:DWORD dst_unused:UNUSED_PAD src0_sel:WORD_1 src1_sel:DWORD
	v_fmamk_f16 v61, v81, 0xb461, v180
	v_mul_f16_e32 v172, 0x3bb2, v58
	v_add_f16_e32 v33, v63, v33
	v_add_f16_e32 v34, v32, v34
	v_mov_b32_e32 v32, 0x35c8
	v_fma_f16 v63, v60, 0xb461, -v171
	v_add_f16_e32 v38, v61, v38
	v_fmamk_f16 v70, v91, 0xb461, v172
	v_mov_b32_e32 v61, 0x3964
	v_mul_f16_sdwa v173, v58, v32 dst_sel:DWORD dst_unused:UNUSED_PAD src0_sel:WORD_1 src1_sel:DWORD
	v_mul_f16_e32 v175, 0x35c8, v58
	v_add_f16_e32 v62, v63, v62
	v_add_f16_e32 v33, v70, v33
	v_mul_f16_sdwa v167, v66, v61 dst_sel:DWORD dst_unused:UNUSED_PAD src0_sel:WORD_1 src1_sel:DWORD
	v_fma_f16 v63, v60, 0x3b76, -v173
	v_mul_f16_e32 v169, 0x3964, v66
	v_fmamk_f16 v70, v91, 0x3b76, v175
	v_mul_f16_sdwa v168, v66, v46 dst_sel:DWORD dst_unused:UNUSED_PAD src0_sel:WORD_1 src1_sel:DWORD
	v_fma_f16 v71, v69, 0x39e9, -v167
	v_add_f16_e32 v34, v63, v34
	v_fmamk_f16 v63, v129, 0x39e9, v169
	v_add_f16_e32 v38, v70, v38
	v_fma_f16 v70, v69, 0x3722, -v168
	v_mul_f16_e32 v170, 0xbb29, v66
	v_mul_f16_sdwa v164, v77, v48 dst_sel:DWORD dst_unused:UNUSED_PAD src0_sel:WORD_1 src1_sel:DWORD
	v_add_f16_e32 v62, v71, v62
	v_add_f16_e32 v33, v63, v33
	;; [unrolled: 1-line block ×3, first 2 shown]
	v_fmamk_f16 v63, v129, 0x3722, v170
	v_fma_f16 v70, v78, 0x3b76, -v164
	v_mul_f16_e32 v166, 0xb836, v77
	v_mul_f16_e32 v165, 0xb5c8, v77
	v_mul_f16_sdwa v163, v77, v47 dst_sel:DWORD dst_unused:UNUSED_PAD src0_sel:WORD_1 src1_sel:DWORD
	v_add_f16_e32 v38, v63, v38
	v_add_f16_e32 v62, v70, v62
	v_fmamk_f16 v70, v104, 0xbacd, v166
	v_mov_b32_e32 v63, 0x3a62
	v_mul_f16_sdwa v161, v85, v43 dst_sel:DWORD dst_unused:UNUSED_PAD src0_sel:WORD_1 src1_sel:DWORD
	v_fmamk_f16 v71, v104, 0x3b76, v165
	v_fma_f16 v72, v78, 0xbacd, -v163
	v_add_f16_e32 v38, v70, v38
	v_mul_f16_e32 v159, 0xbbf7, v85
	v_mul_f16_sdwa v160, v85, v63 dst_sel:DWORD dst_unused:UNUSED_PAD src0_sel:WORD_1 src1_sel:DWORD
	v_fma_f16 v70, v86, 0x2de8, -v161
	v_mul_f16_sdwa v156, v97, v47 dst_sel:DWORD dst_unused:UNUSED_PAD src0_sel:WORD_1 src1_sel:DWORD
	v_add_f16_e32 v33, v71, v33
	v_add_f16_e32 v34, v72, v34
	v_mul_f16_e32 v162, 0x3a62, v85
	v_fmamk_f16 v71, v150, 0x2de8, v159
	v_fma_f16 v72, v86, 0xb8d2, -v160
	v_add_f16_e32 v62, v70, v62
	v_fma_f16 v70, v98, 0xbacd, -v156
	v_mul_f16_sdwa v158, v97, v61 dst_sel:DWORD dst_unused:UNUSED_PAD src0_sel:WORD_1 src1_sel:DWORD
	v_fmamk_f16 v73, v150, 0xb8d2, v162
	v_add_f16_e32 v33, v71, v33
	v_add_f16_e32 v34, v72, v34
	;; [unrolled: 1-line block ×3, first 2 shown]
	v_mul_f16_e32 v157, 0x3964, v97
	v_mul_f16_sdwa v71, v53, v49 dst_sel:DWORD dst_unused:UNUSED_PAD src0_sel:WORD_1 src1_sel:DWORD
	v_mov_b32_e32 v62, 0x3836
	v_fma_f16 v72, v98, 0x39e9, -v158
	v_mul_f16_e32 v155, 0xbacd, v140
	v_add_f16_e32 v38, v73, v38
	v_fmamk_f16 v73, v140, 0x39e9, v157
	v_fma_f16 v74, v55, 0xb461, -v71
	v_mul_f16_sdwa v187, v26, v62 dst_sel:DWORD dst_unused:UNUSED_PAD src0_sel:WORD_1 src1_sel:DWORD
	v_add_f16_e32 v34, v72, v34
	v_fmamk_f16 v72, v97, 0xb836, v155
	v_add_f16_e32 v38, v73, v38
	v_add_f16_e32 v73, v25, v74
	v_fma_f16 v74, v51, 0xbacd, -v187
	v_mul_f16_e32 v75, 0xbbb2, v53
	v_add_f16_e32 v33, v72, v33
	v_mul_f16_sdwa v72, v53, v44 dst_sel:DWORD dst_unused:UNUSED_PAD src0_sel:WORD_1 src1_sel:DWORD
	v_pack_b32_f16 v34, v34, v38
	v_add_f16_e32 v38, v74, v73
	v_fmamk_f16 v73, v57, 0xb461, v75
	v_mul_f16_e32 v188, 0x3836, v26
	v_fma_f16 v74, v55, 0xb8d2, -v72
	v_mul_f16_sdwa v189, v26, v35 dst_sel:DWORD dst_unused:UNUSED_PAD src0_sel:WORD_1 src1_sel:DWORD
	v_mul_f16_e32 v101, 0xba62, v53
	v_add_f16_sdwa v73, v25, v73 dst_sel:DWORD dst_unused:UNUSED_PAD src0_sel:WORD_1 src1_sel:DWORD
	v_fmamk_f16 v76, v84, 0xbacd, v188
	v_add_f16_e32 v74, v25, v74
	v_fma_f16 v96, v51, 0xb461, -v189
	v_fmamk_f16 v102, v57, 0xb8d2, v101
	v_mul_f16_e32 v190, 0x3bb2, v26
	v_mul_f16_sdwa v191, v39, v61 dst_sel:DWORD dst_unused:UNUSED_PAD src0_sel:WORD_1 src1_sel:DWORD
	v_add_f16_e32 v73, v76, v73
	v_add_f16_e32 v74, v96, v74
	v_add_f16_sdwa v76, v25, v102 dst_sel:DWORD dst_unused:UNUSED_PAD src0_sel:WORD_1 src1_sel:DWORD
	v_fmamk_f16 v96, v84, 0xb461, v190
	v_fma_f16 v102, v54, 0x39e9, -v191
	v_mul_f16_e32 v192, 0x3964, v39
	v_mul_f16_sdwa v193, v39, v48 dst_sel:DWORD dst_unused:UNUSED_PAD src0_sel:WORD_1 src1_sel:DWORD
	v_mul_f16_sdwa v195, v58, v46 dst_sel:DWORD dst_unused:UNUSED_PAD src0_sel:WORD_1 src1_sel:DWORD
	v_add_f16_e32 v76, v96, v76
	v_add_f16_e32 v38, v102, v38
	v_fmamk_f16 v96, v81, 0x39e9, v192
	v_fma_f16 v102, v54, 0x3b76, -v193
	v_mul_f16_e32 v196, 0xbb29, v58
	v_mul_f16_sdwa v197, v58, v47 dst_sel:DWORD dst_unused:UNUSED_PAD src0_sel:WORD_1 src1_sel:DWORD
	v_mul_f16_e32 v194, 0xb5c8, v39
	v_add_f16_e32 v73, v96, v73
	v_add_f16_e32 v74, v102, v74
	v_fma_f16 v96, v60, 0x3722, -v195
	v_fmamk_f16 v102, v91, 0x3722, v196
	v_mul_f16_e32 v200, 0xb1e1, v66
	v_fmamk_f16 v105, v81, 0x3b76, v194
	v_mul_f16_e32 v198, 0xb836, v58
	v_add_f16_e32 v38, v96, v38
	v_add_f16_e32 v73, v102, v73
	v_fma_f16 v102, v60, 0xbacd, -v197
	v_mov_b32_e32 v96, 0x3bf7
	v_mul_f16_sdwa v199, v66, v45 dst_sel:DWORD dst_unused:UNUSED_PAD src0_sel:WORD_1 src1_sel:DWORD
	v_add_f16_e32 v76, v105, v76
	v_fmamk_f16 v105, v91, 0xbacd, v198
	v_add_f16_e32 v74, v102, v74
	v_fmamk_f16 v102, v129, 0xbbdd, v200
	v_mul_f16_sdwa v201, v66, v96 dst_sel:DWORD dst_unused:UNUSED_PAD src0_sel:WORD_1 src1_sel:DWORD
	v_fma_f16 v106, v69, 0xbbdd, -v199
	v_mul_f16_e32 v202, 0x3bf7, v66
	v_mul_f16_sdwa v203, v77, v96 dst_sel:DWORD dst_unused:UNUSED_PAD src0_sel:WORD_1 src1_sel:DWORD
	v_mul_f16_e32 v204, 0x3bf7, v77
	v_add_f16_e32 v73, v102, v73
	v_fma_f16 v102, v69, 0x2de8, -v201
	v_mul_f16_sdwa v205, v77, v42 dst_sel:DWORD dst_unused:UNUSED_PAD src0_sel:WORD_1 src1_sel:DWORD
	v_add_f16_e32 v76, v105, v76
	v_add_f16_e32 v38, v106, v38
	v_fmamk_f16 v105, v129, 0x2de8, v202
	v_fma_f16 v106, v78, 0x2de8, -v203
	v_fmamk_f16 v127, v104, 0x2de8, v204
	v_add_f16_e32 v74, v102, v74
	v_fma_f16 v102, v78, 0x39e9, -v205
	v_mul_f16_e32 v206, 0xb964, v77
	v_mul_f16_sdwa v207, v85, v48 dst_sel:DWORD dst_unused:UNUSED_PAD src0_sel:WORD_1 src1_sel:DWORD
	v_mul_f16_e32 v208, 0xb5c8, v85
	v_mul_f16_sdwa v209, v85, v45 dst_sel:DWORD dst_unused:UNUSED_PAD src0_sel:WORD_1 src1_sel:DWORD
	v_add_f16_e32 v76, v105, v76
	v_add_f16_e32 v38, v106, v38
	;; [unrolled: 1-line block ×4, first 2 shown]
	v_fmamk_f16 v102, v104, 0x39e9, v206
	v_fma_f16 v105, v86, 0x3b76, -v207
	v_fmamk_f16 v106, v150, 0x3b76, v208
	v_fma_f16 v127, v86, 0xbbdd, -v209
	v_mul_f16_e32 v210, 0xb1e1, v85
	v_add_f16_e32 v102, v102, v76
	v_add_f16_e32 v38, v105, v38
	;; [unrolled: 1-line block ×4, first 2 shown]
	v_fmamk_f16 v105, v150, 0xbbdd, v210
	v_mul_f16_sdwa v182, v97, v44 dst_sel:DWORD dst_unused:UNUSED_PAD src0_sel:WORD_1 src1_sel:DWORD
	v_mul_f16_sdwa v106, v53, v47 dst_sel:DWORD dst_unused:UNUSED_PAD src0_sel:WORD_1 src1_sel:DWORD
	v_mov_b32_e32 v76, 0x3b29
	v_mul_f16_e32 v127, 0xb836, v53
	v_add_f16_e32 v102, v105, v102
	v_fma_f16 v105, v98, 0xb8d2, -v182
	v_fma_f16 v128, v55, 0xbacd, -v106
	v_mul_f16_sdwa v211, v26, v76 dst_sel:DWORD dst_unused:UNUSED_PAD src0_sel:WORD_1 src1_sel:DWORD
	v_fmamk_f16 v131, v57, 0xbacd, v127
	v_mul_f16_e32 v212, 0x3b29, v26
	v_add_f16_e32 v38, v105, v38
	v_add_f16_e32 v105, v25, v128
	v_fma_f16 v128, v51, 0x3722, -v211
	v_add_f16_sdwa v131, v25, v131 dst_sel:DWORD dst_unused:UNUSED_PAD src0_sel:WORD_1 src1_sel:DWORD
	v_fmamk_f16 v134, v84, 0x3722, v212
	v_mul_f16_sdwa v213, v39, v43 dst_sel:DWORD dst_unused:UNUSED_PAD src0_sel:WORD_1 src1_sel:DWORD
	v_mul_f16_e32 v214, 0xbbf7, v39
	v_add_f16_e32 v105, v128, v105
	v_mul_f16_sdwa v215, v58, v63 dst_sel:DWORD dst_unused:UNUSED_PAD src0_sel:WORD_1 src1_sel:DWORD
	v_add_f16_e32 v128, v134, v131
	v_fma_f16 v131, v54, 0x2de8, -v213
	v_fmamk_f16 v134, v81, 0x2de8, v214
	v_mul_f16_e32 v216, 0x3a62, v58
	v_mul_f16_sdwa v217, v66, v48 dst_sel:DWORD dst_unused:UNUSED_PAD src0_sel:WORD_1 src1_sel:DWORD
	v_mul_f16_e32 v218, 0xb5c8, v66
	v_add_f16_e32 v105, v131, v105
	v_add_f16_e32 v128, v134, v128
	v_fma_f16 v131, v60, 0xb8d2, -v215
	v_fmamk_f16 v134, v91, 0xb8d2, v216
	v_mul_f16_sdwa v219, v77, v45 dst_sel:DWORD dst_unused:UNUSED_PAD src0_sel:WORD_1 src1_sel:DWORD
	v_mul_f16_e32 v220, 0xb1e1, v77
	v_mul_f16_sdwa v221, v85, v61 dst_sel:DWORD dst_unused:UNUSED_PAD src0_sel:WORD_1 src1_sel:DWORD
	v_add_f16_e32 v105, v131, v105
	v_add_f16_e32 v128, v134, v128
	v_fma_f16 v131, v69, 0x3b76, -v217
	v_fmamk_f16 v134, v129, 0x3b76, v218
	v_mul_f16_e32 v222, 0x3964, v85
	v_mul_f16_sdwa v185, v97, v76 dst_sel:DWORD dst_unused:UNUSED_PAD src0_sel:WORD_1 src1_sel:DWORD
	v_mul_f16_e32 v186, 0x3b29, v97
	v_add_f16_e32 v105, v131, v105
	v_add_f16_e32 v128, v134, v128
	v_fma_f16 v131, v78, 0xbbdd, -v219
	v_fmamk_f16 v134, v104, 0xbbdd, v220
	v_mul_f16_e32 v223, 0xba62, v97
	v_mul_f16_sdwa v184, v97, v49 dst_sel:DWORD dst_unused:UNUSED_PAD src0_sel:WORD_1 src1_sel:DWORD
	v_mul_f16_e32 v224, 0xbbb2, v97
	v_add_f16_e32 v105, v131, v105
	v_add_f16_e32 v128, v134, v128
	v_fma_f16 v131, v86, 0x39e9, -v221
	v_fmamk_f16 v134, v150, 0x39e9, v222
	v_fma_f16 v135, v98, 0x3722, -v185
	v_fmamk_f16 v138, v140, 0x3722, v186
	v_fmamk_f16 v139, v140, 0xb8d2, v223
	v_add_f16_e32 v105, v131, v105
	v_add_f16_e32 v128, v134, v128
	v_fma_f16 v131, v98, 0xb461, -v184
	v_fmamk_f16 v134, v140, 0xb461, v224
	v_add_f16_e32 v74, v135, v74
	v_add_f16_e32 v102, v138, v102
	;; [unrolled: 1-line block ×5, first 2 shown]
	v_fmac_f16_e32 v56, 0x3b76, v55
	v_pack_b32_f16 v33, v70, v33
	v_pack_b32_f16 v70, v74, v102
	;; [unrolled: 1-line block ×3, first 2 shown]
	v_pk_add_f16 v27, v27, v52
	v_pack_b32_f16 v52, v105, v128
	s_barrier
	buffer_gl0_inv
	ds_write2_b32 v130, v29, v31 offset0:1 offset1:2
	ds_write2_b32 v130, v33, v34 offset0:3 offset1:4
	;; [unrolled: 1-line block ×3, first 2 shown]
	ds_write2_b32 v130, v27, v52 offset1:7
	v_fma_f16 v27, v57, 0x39e9, -v59
	v_fma_f16 v29, v57, 0x3722, -v30
	v_fmac_f16_e32 v28, 0x3722, v55
	v_fmac_f16_e32 v36, 0x2de8, v55
	v_add_f16_e32 v225, v25, v56
	v_pk_add_f16 v226, v25, v68 op_sel:[1,0] op_sel_hi:[0,1]
	v_fmac_f16_e32 v88, 0x39e9, v51
	v_fma_f16 v31, v57, 0xb461, -v75
	v_fma_f16 v34, v57, 0xbacd, -v127
	v_add_f16_sdwa v227, v25, v27 dst_sel:DWORD dst_unused:UNUSED_PAD src0_sel:WORD_1 src1_sel:DWORD
	v_add_f16_e32 v228, v25, v28
	v_add_f16_sdwa v229, v25, v29 dst_sel:DWORD dst_unused:UNUSED_PAD src0_sel:WORD_1 src1_sel:DWORD
	v_add_f16_e32 v230, v25, v36
	v_fma_f16 v90, v84, 0x2de8, -v90
	v_fmac_f16_e32 v177, 0xb8d2, v51
	v_add_f16_e32 v88, v88, v225
	v_pk_add_f16 v94, v94, v226
	v_fma_f16 v178, v84, 0xb8d2, -v178
	v_fmac_f16_e32 v181, 0xbbdd, v51
	v_fmac_f16_e32 v82, 0x3722, v54
	v_fma_f16 v30, v57, 0x2de8, -v37
	v_add_f16_sdwa v233, v25, v31 dst_sel:DWORD dst_unused:UNUSED_PAD src0_sel:WORD_1 src1_sel:DWORD
	v_add_f16_sdwa v237, v25, v34 dst_sel:DWORD dst_unused:UNUSED_PAD src0_sel:WORD_1 src1_sel:DWORD
	v_add_f16_e32 v90, v90, v227
	v_add_f16_e32 v177, v177, v228
	v_fma_f16 v183, v84, 0xbbdd, -v183
	v_fma_f16 v188, v84, 0xbacd, -v188
	v_add_f16_e32 v178, v178, v229
	v_add_f16_e32 v181, v181, v230
	v_fma_f16 v190, v84, 0xb461, -v190
	v_fma_f16 v84, v84, 0x3722, -v212
	v_add_f16_e32 v82, v82, v88
	v_fma_f16 v83, v81, 0xb8d2, -v83
	v_fmac_f16_e32 v174, 0xbbdd, v54
	v_pk_add_f16 v87, v87, v94
	v_fma_f16 v88, v81, 0xbbdd, -v179
	v_fmac_f16_e32 v176, 0xb461, v54
	v_fmac_f16_e32 v80, 0x2de8, v60
	v_fma_f16 v33, v57, 0xb8d2, -v101
	v_add_f16_sdwa v231, v25, v30 dst_sel:DWORD dst_unused:UNUSED_PAD src0_sel:WORD_1 src1_sel:DWORD
	v_add_f16_e32 v188, v188, v233
	v_add_f16_e32 v84, v84, v237
	;; [unrolled: 1-line block ×4, first 2 shown]
	v_fma_f16 v94, v81, 0xb461, -v180
	v_add_f16_e32 v88, v88, v178
	v_add_f16_e32 v174, v176, v181
	v_fma_f16 v176, v81, 0x39e9, -v192
	v_fma_f16 v177, v81, 0x3b76, -v194
	v_fma_f16 v81, v81, 0x2de8, -v214
	v_fma_f16 v103, v91, 0xbbdd, -v103
	v_fmac_f16_e32 v171, 0xb461, v60
	v_add_f16_e32 v80, v80, v82
	v_pk_add_f16 v82, v100, v87
	v_fma_f16 v87, v91, 0xb461, -v172
	v_fmac_f16_e32 v106, 0xbacd, v55
	v_add_f16_sdwa v235, v25, v33 dst_sel:DWORD dst_unused:UNUSED_PAD src0_sel:WORD_1 src1_sel:DWORD
	v_add_f16_e32 v183, v183, v231
	v_add_f16_e32 v176, v176, v188
	;; [unrolled: 1-line block ×5, first 2 shown]
	v_fma_f16 v90, v91, 0x3b76, -v175
	v_fma_f16 v100, v91, 0x3722, -v196
	v_add_f16_e32 v87, v87, v88
	v_fma_f16 v103, v91, 0xbacd, -v198
	v_fma_f16 v91, v91, 0xb8d2, -v216
	v_pk_add_f16 v82, v93, v82
	v_fma_f16 v93, v129, 0x39e9, -v169
	v_add_f16_e32 v236, v25, v106
	v_fmac_f16_e32 v211, 0x3722, v51
	v_add_f16_e32 v190, v190, v235
	v_add_f16_e32 v94, v94, v183
	;; [unrolled: 1-line block ×4, first 2 shown]
	v_fma_f16 v91, v129, 0xbacd, -v143
	v_add_f16_e32 v87, v93, v87
	v_fma_f16 v93, v129, 0xbbdd, -v200
	v_fmac_f16_e32 v72, 0xb8d2, v55
	v_add_f16_sdwa v238, v25, v40 dst_sel:DWORD dst_unused:UNUSED_PAD src0_sel:WORD_1 src1_sel:DWORD
	v_add_f16_e32 v211, v211, v236
	v_fmac_f16_e32 v213, 0x2de8, v54
	v_add_f16_e32 v177, v177, v190
	v_add_f16_e32 v90, v90, v94
	;; [unrolled: 1-line block ×3, first 2 shown]
	v_fma_f16 v91, v129, 0x3722, -v170
	v_add_f16_e32 v93, v93, v100
	v_fma_f16 v100, v129, 0x3b76, -v218
	v_add_f16_e32 v234, v25, v72
	v_fmac_f16_e32 v189, 0xb461, v51
	v_add_f16_e32 v180, v213, v211
	v_fmac_f16_e32 v215, 0xb8d2, v60
	v_fmac_f16_e32 v95, 0xb461, v69
	v_add_f16_e32 v103, v103, v177
	v_add_f16_e32 v90, v91, v90
	v_fma_f16 v91, v129, 0x2de8, -v202
	v_add_f16_e32 v81, v100, v81
	v_fma_f16 v100, v104, 0x3b76, -v165
	v_add_f16_e32 v65, v65, v238
	v_add_f16_e32 v189, v189, v234
	v_fmac_f16_e32 v193, 0x3b76, v54
	v_fmac_f16_e32 v173, 0x3b76, v60
	v_add_f16_e32 v172, v215, v180
	v_add_f16_e32 v80, v95, v80
	v_fmac_f16_e32 v217, 0x3b76, v69
	v_add_f16_e32 v91, v91, v103
	v_fmac_f16_e32 v132, 0xb8d2, v78
	v_fma_f16 v129, v104, 0xb461, -v137
	v_add_f16_e32 v87, v100, v87
	v_fma_f16 v100, v104, 0x39e9, -v206
	v_add_f16_e32 v64, v64, v65
	v_add_f16_e32 v179, v193, v189
	;; [unrolled: 1-line block ×3, first 2 shown]
	v_fmac_f16_e32 v197, 0xbacd, v60
	v_fmac_f16_e32 v168, 0x3722, v69
	v_add_f16_e32 v103, v217, v172
	v_add_f16_e32 v80, v132, v80
	;; [unrolled: 1-line block ×3, first 2 shown]
	v_fma_f16 v129, v104, 0xbacd, -v166
	v_fma_f16 v132, v104, 0x2de8, -v204
	v_fmac_f16_e32 v219, 0xbbdd, v78
	v_fma_f16 v104, v104, 0xbbdd, -v220
	v_add_f16_e32 v91, v100, v91
	v_add_f16_e32 v64, v67, v64
	v_fma_f16 v67, v150, 0xbbdd, -v210
	v_pk_add_f16 v27, v5, v41 neg_lo:[0,1] neg_hi:[0,1]
	v_pk_mul_f16 v37, 0xbbdd, v55 op_sel_hi:[0,1]
	v_add_f16_e32 v171, v197, v179
	v_add_f16_e32 v88, v168, v88
	v_fmac_f16_e32 v201, 0x2de8, v69
	v_fmac_f16_e32 v163, 0xbacd, v78
	v_add_f16_e32 v100, v219, v103
	v_add_f16_e32 v81, v104, v81
	v_fma_f16 v103, v150, 0x3722, -v154
	v_add_f16_e32 v67, v67, v91
	v_fma_f16 v91, v150, 0x39e9, -v222
	v_pk_add_f16 v36, v41, v5
	v_mul_f16_sdwa v101, v27, v48 dst_sel:DWORD dst_unused:UNUSED_PAD src0_sel:WORD_1 src1_sel:DWORD
	v_fmac_f16_e32 v71, 0xb461, v55
	v_pk_fma_f16 v52, 0xb1e1, v53, v37 op_sel:[0,0,1] op_sel_hi:[0,1,0] neg_lo:[0,1,0] neg_hi:[0,1,0]
	v_pk_fma_f16 v127, 0xb1e1, v53, v37 op_sel:[0,0,1] op_sel_hi:[0,1,0]
	v_fmac_f16_e32 v187, 0xbacd, v51
	v_add_f16_e32 v95, v201, v171
	v_add_f16_e32 v88, v163, v88
	v_fmac_f16_e32 v205, 0x39e9, v78
	v_fmac_f16_e32 v160, 0xb8d2, v86
	v_add_f16_e32 v83, v103, v83
	v_add_f16_e32 v81, v91, v81
	v_fma_f16 v91, v140, 0x3b76, -v153
	v_pk_mul_f16 v51, 0x3b76, v51 op_sel_hi:[0,1]
	v_pk_add_f16 v28, v1, v50 op_sel:[1,0] op_sel_hi:[0,1]
	v_pk_add_f16 v33, v50, v1 op_sel:[1,0] op_sel_hi:[0,1] neg_lo:[0,1] neg_hi:[0,1]
	v_fmamk_f16 v29, v36, 0x3b76, v101
	v_add_f16_e32 v232, v25, v71
	v_pk_add_f16 v239, v25, v52 op_sel:[1,0] op_sel_hi:[0,1]
	v_pk_add_f16 v25, v25, v127 op_sel:[1,0] op_sel_hi:[0,1]
	v_fmac_f16_e32 v191, 0x39e9, v54
	v_add_f16_e32 v95, v205, v95
	v_add_f16_e32 v65, v160, v88
	v_fmac_f16_e32 v209, 0xbbdd, v86
	v_add_f16_e32 v83, v91, v83
	v_fmac_f16_e32 v158, 0x39e9, v98
	v_pk_fma_f16 v91, 0x35c8, v26, v51 op_sel:[0,0,1] op_sel_hi:[0,1,0] neg_lo:[0,1,0] neg_hi:[0,1,0]
	v_pk_mul_f16 v54, 0xbacd, v54 op_sel_hi:[0,1]
	v_pk_fma_f16 v26, 0x35c8, v26, v51 op_sel:[0,0,1] op_sel_hi:[0,1,0]
	v_lshrrev_b32_e32 v59, 16, v28
	v_mul_f16_sdwa v102, v33, v42 dst_sel:DWORD dst_unused:UNUSED_PAD src0_sel:WORD_1 src1_sel:DWORD
	v_lshrrev_b32_e32 v68, 16, v36
	v_mul_f16_e32 v139, 0xb5c8, v27
	v_add_f16_e32 v30, v29, v4
	v_pk_add_f16 v29, v15, v0 neg_lo:[0,1] neg_hi:[0,1]
	v_add_f16_e32 v64, v79, v64
	v_add_f16_e32 v79, v209, v95
	;; [unrolled: 1-line block ×3, first 2 shown]
	v_pk_add_f16 v65, v91, v239
	v_pk_fma_f16 v95, 0xb836, v39, v54 op_sel:[0,0,1] op_sel_hi:[0,1,0] neg_lo:[0,1,0] neg_hi:[0,1,0]
	v_pk_add_f16 v25, v26, v25
	v_pk_mul_f16 v26, 0x39e9, v60 op_sel_hi:[0,1]
	v_pk_fma_f16 v39, 0xb836, v39, v54 op_sel:[0,0,1] op_sel_hi:[0,1,0]
	v_fmamk_f16 v34, v59, 0x39e9, v102
	v_fma_f16 v37, v68, 0x3b76, -v139
	v_mul_f16_e32 v141, 0xb964, v33
	v_pk_add_f16 v31, v0, v15
	v_mul_f16_sdwa v105, v29, v46 dst_sel:DWORD dst_unused:UNUSED_PAD src0_sel:WORD_1 src1_sel:DWORD
	v_fmac_f16_e32 v195, 0x3722, v60
	v_pk_add_f16 v60, v95, v65
	v_pk_fma_f16 v65, 0x3964, v58, v26 op_sel:[0,0,1] op_sel_hi:[0,1,0] neg_lo:[0,1,0] neg_hi:[0,1,0]
	v_pk_add_f16 v25, v39, v25
	v_pk_mul_f16 v39, 0xb8d2, v69 op_sel_hi:[0,1]
	v_pk_fma_f16 v26, 0x3964, v58, v26 op_sel:[0,0,1] op_sel_hi:[0,1,0]
	v_add_f16_e32 v34, v34, v30
	v_add_f16_sdwa v38, v37, v4 dst_sel:DWORD dst_unused:UNUSED_PAD src0_sel:DWORD src1_sel:WORD_1
	v_fma_f16 v40, v28, 0x39e9, -v141
	v_pk_add_f16 v30, v12, v3 neg_lo:[0,1] neg_hi:[0,1]
	v_fmamk_f16 v53, v31, 0x3722, v105
	v_lshrrev_b32_e32 v71, 16, v31
	v_mul_f16_e32 v144, 0xbb29, v29
	v_fmac_f16_e32 v167, 0x39e9, v69
	v_fmac_f16_e32 v199, 0xbbdd, v69
	v_pk_add_f16 v60, v65, v60
	v_pk_fma_f16 v69, 0xba62, v66, v39 op_sel:[0,0,1] op_sel_hi:[0,1,0] neg_lo:[0,1,0] neg_hi:[0,1,0]
	v_pk_add_f16 v25, v26, v25
	v_pk_mul_f16 v26, 0x3722, v78 op_sel_hi:[0,1]
	v_pk_fma_f16 v39, 0xba62, v66, v39 op_sel:[0,0,1] op_sel_hi:[0,1,0]
	v_pk_add_f16 v37, v3, v12
	v_mul_f16_sdwa v131, v30, v43 dst_sel:DWORD dst_unused:UNUSED_PAD src0_sel:WORD_1 src1_sel:DWORD
	v_add_f16_e32 v38, v40, v38
	v_add_f16_e32 v53, v53, v34
	v_fma_f16 v55, v71, 0x3722, -v144
	v_pk_add_f16 v34, v13, v2 neg_lo:[0,1] neg_hi:[0,1]
	v_add_f16_e32 v187, v187, v232
	v_pk_add_f16 v60, v69, v60
	v_pk_fma_f16 v66, 0x3b29, v77, v26 op_sel:[0,0,1] op_sel_hi:[0,1,0] neg_lo:[0,1,0] neg_hi:[0,1,0]
	v_pk_add_f16 v25, v39, v25
	v_pk_fma_f16 v26, 0x3b29, v77, v26 op_sel:[0,0,1] op_sel_hi:[0,1,0]
	v_pk_mul_f16 v39, 0xb461, v86 op_sel_hi:[0,1]
	v_fmamk_f16 v56, v37, 0x2de8, v131
	v_lshrrev_b32_e32 v70, 16, v37
	v_mul_f16_e32 v142, 0xbbf7, v30
	v_pk_add_f16 v40, v2, v13
	v_mul_f16_sdwa v106, v34, v49 dst_sel:DWORD dst_unused:UNUSED_PAD src0_sel:WORD_1 src1_sel:DWORD
	v_add_f16_e32 v57, v55, v38
	v_pk_add_f16 v38, v10, v7 neg_lo:[0,1] neg_hi:[0,1]
	v_add_f16_e32 v178, v191, v187
	v_pk_add_f16 v60, v66, v60
	v_pk_add_f16 v25, v26, v25
	v_pk_fma_f16 v26, 0xbbb2, v85, v39 op_sel:[0,0,1] op_sel_hi:[0,1,0] neg_lo:[0,1,0] neg_hi:[0,1,0]
	v_add_f16_e32 v53, v56, v53
	v_fma_f16 v56, v70, 0x2de8, -v142
	v_fmamk_f16 v73, v40, 0xb461, v106
	v_lshrrev_b32_e32 v72, 16, v40
	v_mul_f16_e32 v145, 0xbbb2, v34
	v_pk_add_f16 v55, v7, v10
	v_mul_f16_sdwa v135, v38, v44 dst_sel:DWORD dst_unused:UNUSED_PAD src0_sel:WORD_1 src1_sel:DWORD
	v_add_f16_e32 v94, v195, v178
	v_pk_add_f16 v82, v133, v82
	v_pk_fma_f16 v39, 0xbbb2, v85, v39 op_sel:[0,0,1] op_sel_hi:[0,1,0]
	v_pk_mul_f16 v77, 0x2de8, v98 op_sel_hi:[0,1]
	v_pk_add_f16 v26, v26, v60
	v_mul_f16_e32 v60, 0xb836, v97
	v_add_f16_e32 v52, v56, v57
	v_add_f16_e32 v57, v73, v53
	v_fma_f16 v74, v72, 0xb461, -v145
	v_fmamk_f16 v75, v55, 0xb8d2, v135
	v_lshrrev_b32_e32 v73, 16, v55
	v_mul_f16_e32 v147, 0xba62, v38
	v_pk_add_f16 v53, v11, v6 neg_lo:[0,1] neg_hi:[0,1]
	v_pk_add_f16 v56, v6, v11
	v_add_f16_e32 v90, v129, v90
	v_fma_f16 v104, v150, 0xb8d2, -v162
	v_add_f16_e32 v94, v199, v94
	v_fmac_f16_e32 v203, 0x2de8, v78
	v_add_f16_e32 v84, v167, v84
	v_fmac_f16_e32 v164, 0x3b76, v78
	v_add_f16_e32 v64, v89, v64
	v_fma_f16 v89, v150, 0x2de8, -v159
	v_fmac_f16_e32 v185, 0x3722, v98
	v_pk_fma_f16 v78, 0x3bf7, v97, v77 op_sel:[0,0,1] op_sel_hi:[0,1,0] neg_lo:[0,1,0] neg_hi:[0,1,0]
	v_pk_add_f16 v25, v39, v25
	v_pk_mul_f16 v39, 0x35c8b1e1, v97
	v_bfi_b32 v60, 0xffff, v60, v82
	v_add_f16_e32 v128, v74, v52
	v_add_f16_e32 v240, v75, v57
	v_fma_f16 v75, v73, 0xb8d2, -v147
	v_mul_f16_sdwa v138, v53, v47 dst_sel:DWORD dst_unused:UNUSED_PAD src0_sel:WORD_1 src1_sel:DWORD
	v_lshrrev_b32_e32 v74, 16, v56
	v_pk_add_f16 v52, v8, v9 neg_lo:[0,1] neg_hi:[0,1]
	v_mul_f16_e32 v149, 0xb836, v53
	v_pk_add_f16 v57, v9, v8
	v_add_f16_e32 v93, v132, v93
	v_add_f16_e32 v88, v104, v90
	v_fma_f16 v90, v150, 0x3b76, -v208
	v_fmac_f16_e32 v221, 0x39e9, v86
	v_fma_f16 v66, v140, 0x3722, -v186
	v_add_f16_e32 v94, v203, v94
	v_fmac_f16_e32 v207, 0x3b76, v86
	v_add_f16_e32 v84, v164, v84
	v_fmac_f16_e32 v161, 0x2de8, v86
	v_add_f16_e32 v69, v185, v79
	v_pk_add_f16 v26, v78, v26
	v_pack_b32_f16 v78, v89, v99
	v_bfi_b32 v39, 0xffff, v87, v39
	v_pk_add_f16 v60, v155, v60 neg_lo:[0,1] neg_hi:[0,1]
	v_pk_add_f16 v79, v92, v82
	v_fmac_f16_e32 v148, 0xbacd, v86
	v_add_f16_e32 v128, v75, v128
	v_fmamk_f16 v241, v56, 0xbacd, v138
	v_mul_f16_sdwa v134, v52, v45 dst_sel:DWORD dst_unused:UNUSED_PAD src0_sel:WORD_1 src1_sel:DWORD
	v_fma_f16 v242, v74, 0xbacd, -v149
	v_lshrrev_b32_e32 v75, 16, v57
	v_mul_f16_e32 v146, 0xb1e1, v52
	v_pk_fma_f16 v77, 0x3bf7, v97, v77 op_sel:[0,0,1] op_sel_hi:[0,1,0]
	v_add_f16_e32 v90, v90, v93
	v_add_f16_e32 v93, v221, v100
	;; [unrolled: 1-line block ×3, first 2 shown]
	v_fma_f16 v67, v140, 0xb461, -v224
	v_fmac_f16_e32 v184, 0xb461, v98
	v_add_f16_e32 v94, v207, v94
	v_fma_f16 v91, v140, 0x39e9, -v157
	v_fmac_f16_e32 v182, 0xb8d2, v98
	v_fma_f16 v65, v140, 0xb8d2, -v223
	v_add_f16_e32 v84, v161, v84
	v_fmac_f16_e32 v156, 0xbacd, v98
	v_pk_add_f16 v39, v78, v39
	v_bfi_b32 v60, 0xffff, v60, v79
	v_add_f16_e32 v80, v148, v80
	v_fmac_f16_e32 v151, 0xbbdd, v98
	v_add_f16_e32 v64, v136, v64
	v_add_f16_e32 v240, v241, v240
	v_fmamk_f16 v241, v57, 0xbbdd, v134
	v_add_f16_e32 v128, v242, v128
	v_fma_f16 v242, v75, 0xbbdd, -v146
	v_pk_add_f16 v25, v77, v25
	v_add_f16_e32 v77, v184, v93
	v_add_f16_e32 v67, v67, v81
	;; [unrolled: 1-line block ×6, first 2 shown]
	v_pk_add_f16 v39, v60, v39
	v_add_f16_e32 v80, v151, v80
	v_add_f16_e32 v64, v152, v64
	;; [unrolled: 1-line block ×4, first 2 shown]
	v_alignbit_b32 v78, v26, v25, 16
	v_alignbit_b32 v25, v25, v26, 16
	v_add_co_u32 v129, s0, v124, 51
	v_pack_b32_f16 v26, v69, v66
	v_pack_b32_f16 v66, v77, v67
	;; [unrolled: 1-line block ×4, first 2 shown]
	v_add_co_ci_u32_e64 v60, null, 0, 0, s0
	v_alignbit_b32 v58, v83, v39, 16
	v_pack_b32_f16 v39, v84, v39
	v_pack_b32_f16 v60, v80, v64
	ds_write2_b32 v130, v25, v78 offset0:8 offset1:9
	ds_write2_b32 v130, v66, v26 offset0:10 offset1:11
	;; [unrolled: 1-line block ×4, first 2 shown]
	ds_write_b32 v130, v60 offset:64
	s_and_saveexec_b32 s0, vcc_lo
	s_cbranch_execz .LBB0_7
; %bb.6:
	v_mul_f16_e32 v26, 0xbacd, v68
	v_alignbit_b32 v65, v50, v50, 16
	v_mul_f16_e32 v50, 0x3722, v28
	v_mul_f16_e32 v54, 0x2de8, v71
	;; [unrolled: 1-line block ×3, first 2 shown]
	v_fmamk_f16 v39, v27, 0x3836, v26
	v_mul_f16_sdwa v60, v27, v47 dst_sel:DWORD dst_unused:UNUSED_PAD src0_sel:WORD_1 src1_sel:DWORD
	v_fmamk_f16 v51, v33, 0xbb29, v50
	v_mul_f16_e32 v64, 0x3b76, v72
	v_mul_f16_sdwa v89, v33, v76 dst_sel:DWORD dst_unused:UNUSED_PAD src0_sel:WORD_1 src1_sel:DWORD
	v_add_f16_sdwa v39, v39, v4 dst_sel:DWORD dst_unused:UNUSED_PAD src0_sel:DWORD src1_sel:WORD_1
	v_fmamk_f16 v78, v36, 0xbacd, v60
	v_mul_f16_e32 v90, 0xbbdd, v73
	v_mul_f16_sdwa v92, v29, v43 dst_sel:DWORD dst_unused:UNUSED_PAD src0_sel:WORD_1 src1_sel:DWORD
	v_fmamk_f16 v91, v59, 0x3722, v89
	v_add_f16_e32 v39, v51, v39
	v_fmamk_f16 v51, v29, 0x3bf7, v54
	v_add_f16_e32 v78, v78, v4
	v_mul_f16_e32 v93, 0x39e9, v74
	v_fmamk_f16 v94, v31, 0x2de8, v92
	v_mul_f16_sdwa v95, v30, v63 dst_sel:DWORD dst_unused:UNUSED_PAD src0_sel:WORD_1 src1_sel:DWORD
	v_add_f16_e32 v39, v51, v39
	v_fmamk_f16 v51, v30, 0xba62, v58
	v_add_f16_e32 v91, v91, v78
	v_mul_f16_sdwa v97, v34, v48 dst_sel:DWORD dst_unused:UNUSED_PAD src0_sel:WORD_1 src1_sel:DWORD
	v_fmac_f16_e32 v26, 0xb836, v27
	v_fmac_f16_e32 v50, 0x3b29, v33
	v_add_f16_e32 v39, v51, v39
	v_fmamk_f16 v51, v34, 0x35c8, v64
	v_add_f16_e32 v91, v94, v91
	v_fmamk_f16 v94, v37, 0xb8d2, v95
	v_add_f16_sdwa v26, v26, v4 dst_sel:DWORD dst_unused:UNUSED_PAD src0_sel:DWORD src1_sel:WORD_1
	v_mul_f16_e32 v99, 0xb461, v75
	v_add_f16_e32 v39, v51, v39
	v_fmamk_f16 v51, v38, 0x31e1, v90
	v_mul_f16_sdwa v100, v53, v61 dst_sel:DWORD dst_unused:UNUSED_PAD src0_sel:WORD_1 src1_sel:DWORD
	v_add_f16_e32 v26, v50, v26
	v_fmac_f16_e32 v54, 0xbbf7, v29
	v_fmamk_f16 v50, v52, 0x3bb2, v99
	v_add_f16_e32 v39, v51, v39
	v_fmamk_f16 v51, v53, 0xb964, v93
	v_mul_f16_sdwa v103, v52, v49 dst_sel:DWORD dst_unused:UNUSED_PAD src0_sel:WORD_1 src1_sel:DWORD
	v_add_f16_e32 v54, v54, v26
	v_fmac_f16_e32 v58, 0x3a62, v30
	v_fmac_f16_e32 v64, 0xb5c8, v34
	v_add_f16_e32 v39, v51, v39
	v_add_f16_e32 v51, v94, v91
	v_fmamk_f16 v91, v40, 0x3b76, v97
	v_mul_f16_sdwa v94, v38, v45 dst_sel:DWORD dst_unused:UNUSED_PAD src0_sel:WORD_1 src1_sel:DWORD
	v_add_f16_e32 v54, v58, v54
	v_add_f16_e32 v26, v50, v39
	v_fma_f16 v50, v36, 0xbacd, -v60
	v_add_f16_e32 v51, v91, v51
	v_fmamk_f16 v91, v55, 0xbbdd, v94
	v_fma_f16 v58, v59, 0x3722, -v89
	v_mul_f16_e32 v89, 0x3bb2, v33
	v_add_f16_e32 v50, v50, v4
	v_fmac_f16_e32 v90, 0xb1e1, v38
	v_add_f16_e32 v51, v91, v51
	v_fmamk_f16 v91, v56, 0x39e9, v100
	v_fmamk_f16 v60, v28, 0xb461, v89
	v_add_f16_e32 v50, v58, v50
	v_fma_f16 v58, v31, 0x2de8, -v92
	v_mul_f16_e32 v92, 0xb5c8, v29
	v_add_f16_e32 v39, v91, v51
	v_fmamk_f16 v51, v57, 0xb461, v103
	v_mul_f16_e32 v91, 0xba62, v27
	v_add_f16_e32 v50, v58, v50
	v_fma_f16 v58, v37, 0xb8d2, -v95
	v_fmac_f16_e32 v93, 0x3964, v53
	v_add_f16_e32 v39, v51, v39
	v_add_f16_e32 v51, v64, v54
	v_fmamk_f16 v54, v68, 0xb8d2, v91
	v_add_f16_e32 v50, v58, v50
	v_fma_f16 v58, v40, 0x3b76, -v97
	v_mul_f16_e32 v95, 0x3bf7, v34
	v_add_f16_e32 v51, v90, v51
	v_add_f16_sdwa v54, v54, v4 dst_sel:DWORD dst_unused:UNUSED_PAD src0_sel:DWORD src1_sel:WORD_1
	v_mul_f16_e32 v90, 0xb836, v30
	v_add_f16_e32 v50, v58, v50
	v_fma_f16 v58, v55, 0xbbdd, -v94
	v_add_f16_e32 v51, v93, v51
	v_add_f16_e32 v54, v60, v54
	v_fmamk_f16 v60, v71, 0x3b76, v92
	v_mul_f16_e32 v93, 0xb964, v38
	v_add_f16_e32 v50, v58, v50
	v_fma_f16 v58, v56, 0x39e9, -v100
	v_fmac_f16_e32 v99, 0xbbb2, v52
	v_add_f16_e32 v54, v60, v54
	v_fmamk_f16 v60, v70, 0xbacd, v90
	v_mul_f16_e32 v94, 0xb1e1, v53
	v_mul_f16_sdwa v97, v27, v44 dst_sel:DWORD dst_unused:UNUSED_PAD src0_sel:WORD_1 src1_sel:DWORD
	v_add_f16_e32 v58, v58, v50
	v_fma_f16 v64, v57, 0xb461, -v103
	v_add_f16_e32 v54, v60, v54
	v_fmamk_f16 v60, v72, 0x2de8, v95
	v_add_f16_e32 v50, v99, v51
	v_fma_f16 v99, v36, 0xb8d2, -v97
	v_mul_f16_sdwa v100, v33, v35 dst_sel:DWORD dst_unused:UNUSED_PAD src0_sel:WORD_1 src1_sel:DWORD
	v_mul_f16_e32 v103, 0xbbb2, v27
	v_add_f16_e32 v54, v60, v54
	v_fmamk_f16 v60, v73, 0x39e9, v93
	v_add_f16_e32 v51, v64, v58
	v_add_f16_e32 v58, v99, v4
	v_mul_f16_sdwa v99, v29, v48 dst_sel:DWORD dst_unused:UNUSED_PAD src0_sel:WORD_1 src1_sel:DWORD
	v_fmamk_f16 v64, v68, 0xb461, v103
	v_add_f16_e32 v54, v60, v54
	v_fmamk_f16 v60, v74, 0xbbdd, v94
	v_mul_f16_e32 v132, 0x3836, v33
	v_mul_f16_e32 v157, 0xbbf7, v27
	v_mul_f16_sdwa v133, v30, v47 dst_sel:DWORD dst_unused:UNUSED_PAD src0_sel:WORD_1 src1_sel:DWORD
	v_add_f16_sdwa v64, v64, v4 dst_sel:DWORD dst_unused:UNUSED_PAD src0_sel:DWORD src1_sel:WORD_1
	v_add_f16_e32 v54, v60, v54
	v_fma_f16 v60, v59, 0xb461, -v100
	v_fmamk_f16 v136, v28, 0xbacd, v132
	v_mul_f16_e32 v137, 0x3964, v29
	v_fmamk_f16 v160, v68, 0x2de8, v157
	v_mul_f16_e32 v161, 0xb1e1, v33
	v_add_f16_e32 v58, v60, v58
	v_fma_f16 v60, v31, 0x3b76, -v99
	v_mul_f16_e32 v104, 0x3b29, v52
	v_mul_f16_sdwa v140, v34, v96 dst_sel:DWORD dst_unused:UNUSED_PAD src0_sel:WORD_1 src1_sel:DWORD
	v_add_f16_e32 v64, v136, v64
	v_fmamk_f16 v136, v71, 0x39e9, v137
	v_add_f16_e32 v58, v60, v58
	v_fma_f16 v60, v37, 0xbacd, -v133
	v_mul_f16_e32 v143, 0xbb29, v30
	v_add_f16_sdwa v160, v160, v4 dst_sel:DWORD dst_unused:UNUSED_PAD src0_sel:DWORD src1_sel:WORD_1
	v_fmamk_f16 v163, v28, 0xbbdd, v161
	v_mul_f16_e32 v164, 0x3bb2, v29
	v_add_f16_e32 v58, v60, v58
	v_fma_f16 v60, v40, 0x2de8, -v140
	v_mul_f16_sdwa v148, v38, v42 dst_sel:DWORD dst_unused:UNUSED_PAD src0_sel:WORD_1 src1_sel:DWORD
	v_add_f16_e32 v64, v136, v64
	v_fmamk_f16 v136, v70, 0x3722, v143
	v_mul_f16_e32 v150, 0xb1e1, v34
	v_fmamk_f16 v151, v75, 0x3722, v104
	v_add_f16_e32 v160, v163, v160
	v_fmamk_f16 v163, v71, 0xb461, v164
	v_mul_f16_e32 v166, 0x35c8, v30
	v_add_f16_e32 v58, v60, v58
	v_fma_f16 v60, v55, 0x39e9, -v148
	v_add_f16_e32 v64, v136, v64
	v_fmamk_f16 v136, v72, 0xbbdd, v150
	v_mul_f16_e32 v152, 0x3bf7, v38
	v_add_f16_e32 v54, v151, v54
	v_mul_f16_sdwa v151, v53, v45 dst_sel:DWORD dst_unused:UNUSED_PAD src0_sel:WORD_1 src1_sel:DWORD
	v_add_f16_e32 v160, v163, v160
	v_fmamk_f16 v163, v70, 0x3b76, v166
	v_mul_f16_e32 v167, 0xbb29, v34
	v_add_f16_e32 v58, v60, v58
	v_add_f16_e32 v60, v136, v64
	v_fmamk_f16 v64, v73, 0x2de8, v152
	v_mul_f16_e32 v136, 0xb5c8, v53
	v_fma_f16 v153, v56, 0xbbdd, -v151
	v_mul_f16_sdwa v155, v52, v76 dst_sel:DWORD dst_unused:UNUSED_PAD src0_sel:WORD_1 src1_sel:DWORD
	v_mul_f16_sdwa v168, v53, v48 dst_sel:DWORD dst_unused:UNUSED_PAD src0_sel:WORD_1 src1_sel:DWORD
	v_add_f16_e32 v48, v163, v160
	v_fmamk_f16 v160, v72, 0x3722, v167
	v_mul_f16_e32 v163, 0xb836, v38
	v_mul_f16_sdwa v154, v27, v49 dst_sel:DWORD dst_unused:UNUSED_PAD src0_sel:WORD_1 src1_sel:DWORD
	v_add_f16_e32 v49, v64, v60
	v_fmamk_f16 v60, v74, 0x3b76, v136
	v_add_f16_e32 v58, v153, v58
	v_fma_f16 v156, v57, 0x3722, -v155
	v_mul_f16_e32 v159, 0xba62, v52
	v_add_f16_e32 v48, v160, v48
	v_fmamk_f16 v160, v73, 0xbacd, v163
	v_mul_f16_e32 v170, 0x3a62, v53
	v_add_f16_e32 v49, v60, v49
	v_fmamk_f16 v171, v75, 0xb8d2, v159
	v_mul_f16_sdwa v173, v33, v45 dst_sel:DWORD dst_unused:UNUSED_PAD src0_sel:WORD_1 src1_sel:DWORD
	v_add_f16_e32 v160, v160, v48
	v_fmamk_f16 v172, v74, 0xb8d2, v170
	v_add_f16_e32 v48, v156, v58
	v_mul_f16_sdwa v156, v27, v43 dst_sel:DWORD dst_unused:UNUSED_PAD src0_sel:WORD_1 src1_sel:DWORD
	v_add_f16_e32 v58, v171, v49
	v_mul_f16_e32 v171, 0xbb29, v27
	v_add_f16_e32 v160, v172, v160
	v_mul_f16_e32 v176, 0xba62, v33
	v_fma_f16 v172, v36, 0x2de8, -v156
	v_fma_f16 v177, v59, 0xbbdd, -v173
	v_fmamk_f16 v175, v68, 0x3722, v171
	v_mul_f16_sdwa v178, v29, v35 dst_sel:DWORD dst_unused:UNUSED_PAD src0_sel:WORD_1 src1_sel:DWORD
	v_fmamk_f16 v179, v28, 0xb8d2, v176
	v_add_f16_e32 v172, v172, v4
	v_mul_f16_e32 v180, 0x31e1, v29
	v_add_f16_sdwa v175, v175, v4 dst_sel:DWORD dst_unused:UNUSED_PAD src0_sel:DWORD src1_sel:WORD_1
	v_mul_f16_sdwa v181, v30, v32 dst_sel:DWORD dst_unused:UNUSED_PAD src0_sel:WORD_1 src1_sel:DWORD
	v_mul_f16_sdwa v162, v30, v46 dst_sel:DWORD dst_unused:UNUSED_PAD src0_sel:WORD_1 src1_sel:DWORD
	v_add_f16_e32 v172, v177, v172
	v_fma_f16 v177, v31, 0xb461, -v178
	v_add_f16_e32 v175, v179, v175
	v_fmamk_f16 v179, v71, 0xbbdd, v180
	v_mul_f16_e32 v182, 0x3bb2, v30
	v_mul_f16_sdwa v46, v34, v46 dst_sel:DWORD dst_unused:UNUSED_PAD src0_sel:WORD_1 src1_sel:DWORD
	v_add_f16_e32 v172, v177, v172
	v_fma_f16 v177, v37, 0x3b76, -v181
	v_add_f16_e32 v175, v179, v175
	v_fmamk_f16 v179, v70, 0xb461, v182
	v_mul_f16_e32 v183, 0x3964, v34
	;; [unrolled: 6-line block ×3, first 2 shown]
	v_mul_f16_sdwa v63, v53, v63 dst_sel:DWORD dst_unused:UNUSED_PAD src0_sel:WORD_1 src1_sel:DWORD
	v_add_f16_e32 v172, v177, v172
	v_fma_f16 v177, v55, 0xbacd, -v47
	v_mul_f16_e32 v49, 0x39e9, v75
	v_add_f16_e32 v175, v179, v175
	v_fmamk_f16 v179, v73, 0x3b76, v184
	v_mul_f16_e32 v185, 0xbbf7, v53
	v_add_f16_e32 v172, v177, v172
	v_fma_f16 v177, v56, 0xb8d2, -v63
	v_fmamk_f16 v174, v52, 0x3964, v49
	v_add_f16_e32 v175, v179, v175
	v_fmamk_f16 v179, v74, 0x2de8, v185
	v_mul_f16_e32 v186, 0xb836, v52
	v_add_f16_e32 v172, v177, v172
	v_mul_f16_sdwa v177, v27, v42 dst_sel:DWORD dst_unused:UNUSED_PAD src0_sel:WORD_1 src1_sel:DWORD
	v_mul_f16_e32 v79, 0x3b76, v68
	v_add_f16_e32 v175, v179, v175
	v_fmamk_f16 v179, v75, 0xbacd, v186
	v_add_f16_e32 v42, v174, v160
	v_fma_f16 v160, v36, 0x39e9, -v177
	v_mul_f16_sdwa v43, v33, v43 dst_sel:DWORD dst_unused:UNUSED_PAD src0_sel:WORD_1 src1_sel:DWORD
	v_mul_f16_e32 v81, 0x39e9, v28
	v_mul_f16_sdwa v169, v52, v44 dst_sel:DWORD dst_unused:UNUSED_PAD src0_sel:WORD_1 src1_sel:DWORD
	v_add_f16_e32 v174, v179, v175
	v_add_f16_e32 v160, v160, v4
	v_fma_f16 v179, v59, 0x2de8, -v43
	v_mul_f16_sdwa v44, v29, v44 dst_sel:DWORD dst_unused:UNUSED_PAD src0_sel:WORD_1 src1_sel:DWORD
	v_add_f16_e32 v79, v139, v79
	v_mul_f16_e32 v83, 0x3722, v71
	v_mul_f16_sdwa v165, v34, v45 dst_sel:DWORD dst_unused:UNUSED_PAD src0_sel:WORD_1 src1_sel:DWORD
	v_add_f16_e32 v160, v179, v160
	v_fma_f16 v179, v31, 0xb8d2, -v44
	v_mul_f16_sdwa v45, v30, v45 dst_sel:DWORD dst_unused:UNUSED_PAD src0_sel:WORD_1 src1_sel:DWORD
	v_add_f16_sdwa v79, v79, v4 dst_sel:DWORD dst_unused:UNUSED_PAD src0_sel:DWORD src1_sel:WORD_1
	v_add_f16_e32 v81, v141, v81
	v_mul_f16_e32 v77, 0x3b76, v36
	v_mul_f16_e32 v85, 0x2de8, v70
	v_mul_f16_sdwa v153, v33, v62 dst_sel:DWORD dst_unused:UNUSED_PAD src0_sel:WORD_1 src1_sel:DWORD
	v_add_f16_e32 v160, v179, v160
	v_fma_f16 v179, v37, 0xbbdd, -v45
	v_mul_f16_sdwa v62, v34, v62 dst_sel:DWORD dst_unused:UNUSED_PAD src0_sel:WORD_1 src1_sel:DWORD
	v_add_f16_e32 v79, v81, v79
	v_add_f16_e32 v81, v144, v83
	v_mul_f16_e32 v80, 0x39e9, v59
	v_mul_f16_e32 v86, 0xb461, v72
	v_add_f16_e32 v160, v179, v160
	v_fma_f16 v179, v40, 0xbacd, -v62
	v_mul_f16_sdwa v35, v38, v35 dst_sel:DWORD dst_unused:UNUSED_PAD src0_sel:WORD_1 src1_sel:DWORD
	v_sub_f16_e32 v77, v77, v101
	v_add_f16_e32 v79, v81, v79
	v_add_f16_e32 v81, v142, v85
	v_mul_f16_e32 v82, 0x3722, v31
	v_mul_f16_e32 v87, 0xb8d2, v73
	v_add_f16_e32 v144, v179, v160
	v_fma_f16 v85, v55, 0xb461, -v35
	v_mul_f16_sdwa v76, v53, v76 dst_sel:DWORD dst_unused:UNUSED_PAD src0_sel:WORD_1 src1_sel:DWORD
	v_add_f16_e32 v77, v77, v4
	v_sub_f16_e32 v80, v80, v102
	v_add_f16_e32 v79, v81, v79
	v_add_f16_e32 v81, v145, v86
	v_mul_f16_e32 v84, 0x2de8, v37
	v_mul_f16_e32 v88, 0xbacd, v74
	v_add_f16_e32 v85, v85, v144
	v_fma_f16 v86, v56, 0x3722, -v76
	v_add_f16_e32 v77, v80, v77
	v_sub_f16_e32 v80, v82, v105
	v_add_f16_e32 v79, v81, v79
	v_add_f16_e32 v81, v147, v87
	v_mul_f16_e32 v69, 0xb461, v40
	v_mul_f16_e32 v98, 0xbbdd, v75
	v_add_f16_e32 v82, v86, v85
	v_add_f16_e32 v77, v80, v77
	v_sub_f16_e32 v80, v84, v131
	v_add_f16_e32 v79, v81, v79
	v_add_f16_e32 v81, v149, v88
	v_fma_f16 v85, v68, 0xb8d2, -v91
	v_mul_f16_e32 v66, 0xb8d2, v55
	v_add_f16_e32 v77, v80, v77
	v_sub_f16_e32 v69, v69, v106
	v_add_f16_e32 v79, v81, v79
	v_add_f16_e32 v80, v146, v98
	v_add_f16_sdwa v81, v85, v4 dst_sel:DWORD dst_unused:UNUSED_PAD src0_sel:DWORD src1_sel:WORD_1
	v_fma_f16 v85, v28, 0xb461, -v89
	v_alignbit_b32 v25, v4, v4, 16
	v_add_f16_e32 v69, v69, v77
	v_sub_f16_e32 v66, v66, v135
	v_add_f16_e32 v79, v80, v79
	v_add_f16_e32 v80, v85, v81
	v_fma_f16 v81, v71, 0x3b76, -v92
	v_mul_f16_e32 v67, 0xbacd, v56
	v_add_f16_e32 v66, v66, v69
	v_pk_add_f16 v5, v5, v25 op_sel:[0,1] op_sel_hi:[1,0]
	v_fmac_f16_e32 v97, 0xb8d2, v36
	v_add_f16_e32 v69, v81, v80
	v_fma_f16 v80, v70, 0xbacd, -v90
	v_sub_f16_e32 v67, v67, v138
	v_pk_add_f16 v5, v65, v5
	v_fmac_f16_e32 v100, 0xb461, v59
	v_fmac_f16_e32 v99, 0x3b76, v31
	v_add_f16_e32 v65, v80, v69
	v_fma_f16 v69, v72, 0x2de8, -v95
	v_add_f16_e32 v66, v67, v66
	v_add_f16_e32 v67, v97, v4
	v_pk_add_f16 v5, v15, v5
	v_fmac_f16_e32 v133, 0xbacd, v37
	v_add_f16_e32 v15, v69, v65
	v_fma_f16 v65, v73, 0x39e9, -v93
	v_add_f16_e32 v67, v100, v67
	v_pk_add_f16 v5, v12, v5
	v_fma_f16 v64, v36, 0xb461, -v154
	v_fmac_f16_e32 v140, 0x2de8, v40
	v_add_f16_e32 v12, v65, v15
	v_fma_f16 v15, v74, 0xbbdd, -v94
	v_fma_f16 v65, v68, 0xb461, -v103
	v_add_f16_e32 v67, v99, v67
	v_pk_add_f16 v5, v13, v5
	v_fmac_f16_e32 v154, 0xb461, v36
	v_add_f16_e32 v12, v15, v12
	v_add_f16_sdwa v13, v65, v4 dst_sel:DWORD dst_unused:UNUSED_PAD src0_sel:DWORD src1_sel:WORD_1
	v_fma_f16 v15, v28, 0xbacd, -v132
	v_add_f16_e32 v67, v133, v67
	v_mul_f16_e32 v78, 0xbbdd, v57
	v_add_f16_e32 v60, v64, v4
	v_fma_f16 v64, v59, 0xbacd, -v153
	v_add_f16_e32 v13, v15, v13
	v_fma_f16 v15, v71, 0x39e9, -v137
	v_add_f16_e32 v65, v140, v67
	v_fma_f16 v67, v75, 0x3722, -v104
	v_add_f16_e32 v69, v154, v4
	v_fmac_f16_e32 v153, 0xbacd, v59
	v_add_f16_e32 v13, v15, v13
	v_fma_f16 v15, v70, 0x3722, -v143
	v_sub_f16_e32 v78, v78, v134
	v_add_f16_e32 v12, v67, v12
	v_add_f16_e32 v67, v153, v69
	v_fma_f16 v69, v68, 0x2de8, -v157
	v_add_f16_e32 v13, v15, v13
	v_fma_f16 v15, v72, 0xbbdd, -v150
	;; [unrolled: 2-line block ×3, first 2 shown]
	v_add_f16_sdwa v69, v69, v4 dst_sel:DWORD dst_unused:UNUSED_PAD src0_sel:DWORD src1_sel:WORD_1
	v_mul_f16_sdwa v158, v29, v61 dst_sel:DWORD dst_unused:UNUSED_PAD src0_sel:WORD_1 src1_sel:DWORD
	v_add_f16_e32 v13, v15, v13
	v_fma_f16 v15, v73, 0x2de8, -v152
	v_mul_f16_sdwa v61, v52, v61 dst_sel:DWORD dst_unused:UNUSED_PAD src0_sel:WORD_1 src1_sel:DWORD
	v_add_f16_e32 v69, v78, v69
	v_fma_f16 v78, v71, 0xb461, -v164
	v_fmac_f16_e32 v156, 0x2de8, v36
	v_add_f16_e32 v13, v15, v13
	v_fma_f16 v15, v74, 0x3b76, -v136
	v_fma_f16 v68, v68, 0x3722, -v171
	v_add_f16_e32 v69, v78, v69
	v_fma_f16 v78, v70, 0x3b76, -v166
	v_fma_f16 v187, v57, 0x39e9, -v61
	v_add_f16_e32 v13, v15, v13
	v_fma_f16 v15, v75, 0xb8d2, -v159
	v_pk_mul_f16 v175, 0x39e93722, v36
	v_fmac_f16_e32 v173, 0xbbdd, v59
	v_add_f16_sdwa v68, v68, v4 dst_sel:DWORD dst_unused:UNUSED_PAD src0_sel:DWORD src1_sel:WORD_1
	v_fma_f16 v80, v28, 0xb8d2, -v176
	v_add_f16_e32 v13, v15, v13
	v_add_f16_e32 v15, v78, v69
	v_fma_f16 v69, v72, 0x3722, -v167
	v_add_f16_e32 v78, v156, v4
	v_add_f16_e32 v172, v187, v172
	v_pk_mul_f16 v187, 0xba62bbf7, v33
	v_fmac_f16_e32 v178, 0xb461, v31
	v_add_f16_e32 v15, v69, v15
	v_fma_f16 v69, v73, 0xbacd, -v163
	v_add_f16_e32 v68, v80, v68
	v_fma_f16 v71, v71, 0xbbdd, -v180
	v_pk_fma_f16 v80, 0xbb29b964, v27, v175 op_sel:[0,0,1] op_sel_hi:[1,1,0]
	v_pk_mul_f16 v188, 0xb8d2bbdd, v31
	v_add_f16_e32 v15, v69, v15
	v_add_f16_e32 v69, v173, v78
	v_fmac_f16_e32 v181, 0x3b76, v37
	v_add_f16_e32 v68, v71, v68
	v_fma_f16 v70, v70, 0xb461, -v182
	v_pk_add_f16 v71, v80, v25
	v_add_f16_e32 v69, v178, v69
	v_pk_fma_f16 v81, 0xb8d22de8, v28, v187
	v_pk_mul_f16 v189, 0xbbddb461, v37
	v_fmac_f16_e32 v46, 0x3722, v40
	v_add_f16_e32 v68, v70, v68
	v_add_f16_e32 v69, v181, v69
	v_fma_f16 v70, v72, 0x39e9, -v183
	v_pk_add_f16 v71, v81, v71
	v_pk_fma_f16 v72, 0x31e1ba62, v29, v188 op_sel:[0,0,1] op_sel_hi:[1,1,0]
	v_pk_add_f16 v5, v10, v5
	v_pk_mul_f16 v190, 0xbacd39e9, v40
	v_add_f16_e32 v46, v46, v69
	v_fmac_f16_e32 v47, 0xbacd, v55
	v_add_f16_e32 v68, v70, v68
	v_fma_f16 v69, v73, 0x3b76, -v184
	v_pk_add_f16 v70, v72, v71
	v_pk_fma_f16 v71, 0x3bb2b1e1, v30, v189 op_sel:[0,0,1] op_sel_hi:[1,1,0]
	v_pk_add_f16 v5, v11, v5
	v_add_f16_e32 v46, v47, v46
	v_fmac_f16_e32 v63, 0xb8d2, v56
	v_add_f16_e32 v47, v69, v68
	v_fma_f16 v68, v74, 0x2de8, -v185
	v_pk_add_f16 v69, v71, v70
	v_pk_fma_f16 v70, 0x39643836, v34, v190 op_sel:[0,0,1] op_sel_hi:[1,1,0]
	v_pk_add_f16 v5, v8, v5
	v_add_f16_e32 v46, v63, v46
	v_fmac_f16_e32 v61, 0x39e9, v57
	v_add_f16_e32 v47, v68, v47
	v_pk_add_f16 v68, v70, v69
	v_pk_fma_f16 v69, 0xbb29b964, v27, v175 op_sel:[0,0,1] op_sel_hi:[1,1,0] neg_lo:[0,1,0] neg_hi:[0,1,0]
	v_pk_add_f16 v5, v9, v5
	v_fma_f16 v63, v75, 0xbacd, -v186
	v_add_f16_e32 v46, v61, v46
	v_pk_fma_f16 v61, 0xb8d22de8, v28, v187 neg_lo:[0,0,1] neg_hi:[0,0,1]
	v_fma_f16 v78, v74, 0xb8d2, -v170
	v_pk_add_f16 v5, v6, v5
	v_bfi_b32 v6, 0xffff, v80, v69
	v_add_f16_e32 v47, v63, v47
	v_add_f16_e32 v63, v69, v25
	v_pk_fma_f16 v74, 0x31e1ba62, v29, v188 op_sel:[0,0,1] op_sel_hi:[1,1,0] neg_lo:[0,1,0] neg_hi:[0,1,0]
	v_pk_add_f16 v5, v7, v5
	v_pk_add_f16 v6, v6, v25
	v_bfi_b32 v7, 0xffff, v81, v61
	v_add_f16_e32 v63, v61, v63
	v_pk_fma_f16 v11, 0x3bb2b1e1, v30, v189 op_sel:[0,0,1] op_sel_hi:[1,1,0] neg_lo:[0,1,0] neg_hi:[0,1,0]
	v_pk_add_f16 v2, v2, v5
	v_pk_mul_f16 v139, 0xb4613b76, v55
	v_pk_add_f16 v5, v7, v6
	v_bfi_b32 v6, 0xffff, v72, v74
	v_fmac_f16_e32 v177, 0x39e9, v36
	v_pk_fma_f16 v75, 0x39643836, v34, v190 op_sel:[0,0,1] op_sel_hi:[1,1,0] neg_lo:[0,1,0] neg_hi:[0,1,0]
	v_add_f16_e32 v63, v74, v63
	v_pk_add_f16 v2, v3, v2
	v_pk_add_f16 v3, v6, v5
	v_bfi_b32 v5, 0xffff, v71, v11
	v_pk_mul_f16 v141, 0x37222de8, v56
	v_pk_fma_f16 v73, 0xb5c83bb2, v38, v139 op_sel:[0,0,1] op_sel_hi:[1,1,0]
	v_add_f16_e32 v4, v177, v4
	v_fmac_f16_e32 v43, 0x2de8, v59
	v_pk_fma_f16 v8, 0xb5c83bb2, v38, v139 op_sel:[0,0,1] op_sel_hi:[1,1,0] neg_lo:[0,1,0] neg_hi:[0,1,0]
	v_add_f16_e32 v63, v11, v63
	v_pk_add_f16 v0, v0, v2
	v_mul_u32_u24_e32 v2, 17, v129
	v_pk_add_f16 v3, v5, v3
	v_bfi_b32 v5, 0xffff, v70, v75
	v_pk_fma_f16 v10, 0xbbf73b29, v53, v141 op_sel:[0,0,1] op_sel_hi:[1,1,0]
	v_pk_fma_f16 v59, 0xbbf73b29, v53, v141 op_sel:[0,0,1] op_sel_hi:[1,1,0] neg_lo:[0,1,0] neg_hi:[0,1,0]
	v_add_f16_e32 v4, v43, v4
	v_add_f16_e32 v43, v75, v63
	v_pk_add_f16 v0, v1, v0
	v_lshlrev_b32_e32 v1, 2, v2
	v_pk_add_f16 v2, v5, v3
	v_bfi_b32 v3, 0xffff, v73, v8
	v_add_f16_e32 v60, v64, v60
	v_fma_f16 v64, v31, 0x39e9, -v158
	v_pk_mul_f16 v191, 0x3b76bacd, v57
	v_add_f16_e32 v43, v8, v43
	v_pk_add_f16 v0, v41, v0
	v_pack_b32_f16 v5, v66, v79
	v_pk_mul_f16 v6, 0xbbdd, v36 op_sel_hi:[0,1]
	v_pk_add_f16 v2, v3, v2
	v_bfi_b32 v3, 0xffff, v10, v59
	v_add_f16_e32 v60, v64, v60
	v_fma_f16 v64, v37, 0x3722, -v162
	v_pk_fma_f16 v9, 0xb83635c8, v52, v191 op_sel:[0,0,1] op_sel_hi:[1,1,0] neg_lo:[0,1,0] neg_hi:[0,1,0]
	v_add_f16_e32 v43, v59, v43
	ds_write2_b32 v1, v0, v5 offset1:1
	v_pk_fma_f16 v0, 0xb83635c8, v52, v191 op_sel:[0,0,1] op_sel_hi:[1,1,0]
	v_pk_fma_f16 v5, 0xb1e1, v27, v6 op_sel:[0,0,1] op_sel_hi:[0,1,0] neg_lo:[0,1,0] neg_hi:[0,1,0]
	v_pk_mul_f16 v8, 0x35c8, v33 op_sel_hi:[0,1]
	v_pk_add_f16 v2, v3, v2
	v_pk_fma_f16 v3, 0xb1e1, v27, v6 op_sel:[0,0,1] op_sel_hi:[0,1,0]
	v_add_f16_e32 v60, v64, v60
	v_fma_f16 v64, v40, 0xbbdd, -v165
	v_mul_f16_sdwa v96, v38, v96 dst_sel:DWORD dst_unused:UNUSED_PAD src0_sel:WORD_1 src1_sel:DWORD
	v_add_f16_e32 v7, v9, v43
	v_bfi_b32 v0, 0xffff, v0, v9
	v_pk_add_f16 v5, v5, v25
	v_pk_fma_f16 v6, 0x3b76, v28, v8 op_sel_hi:[0,1,1] neg_lo:[0,0,1] neg_hi:[0,0,1]
	v_pk_mul_f16 v9, 0xbacd, v31 op_sel_hi:[0,1]
	v_pk_add_f16 v3, v3, v25
	v_pk_fma_f16 v8, 0x3b76, v28, v8 op_sel_hi:[0,1,1]
	v_add_f16_e32 v60, v64, v60
	v_fma_f16 v64, v55, 0x2de8, -v96
	v_pk_add_f16 v0, v0, v2
	v_pk_add_f16 v2, v6, v5
	v_pk_fma_f16 v5, 0xb836, v29, v9 op_sel:[0,0,1] op_sel_hi:[0,1,0] neg_lo:[0,1,0] neg_hi:[0,1,0]
	v_pk_mul_f16 v6, 0x39e9, v37 op_sel_hi:[0,1]
	v_pk_add_f16 v3, v8, v3
	v_pk_fma_f16 v8, 0xb836, v29, v9 op_sel:[0,0,1] op_sel_hi:[0,1,0]
	v_fmac_f16_e32 v158, 0x39e9, v31
	v_add_f16_e32 v60, v64, v60
	v_fma_f16 v64, v56, 0x3b76, -v168
	v_pk_add_f16 v2, v5, v2
	v_pk_fma_f16 v5, 0x3964, v30, v6 op_sel:[0,0,1] op_sel_hi:[0,1,0] neg_lo:[0,1,0] neg_hi:[0,1,0]
	v_pk_mul_f16 v11, 0xb8d2, v40 op_sel_hi:[0,1]
	v_pk_add_f16 v3, v8, v3
	v_pk_fma_f16 v6, 0x3964, v30, v6 op_sel:[0,0,1] op_sel_hi:[0,1,0]
	v_fmac_f16_e32 v44, 0xb8d2, v31
	v_add_f16_e32 v67, v158, v67
	v_fmac_f16_e32 v162, 0x3722, v37
	v_add_f16_e32 v60, v64, v60
	v_fma_f16 v64, v57, 0xb8d2, -v169
	v_pk_add_f16 v2, v5, v2
	v_pk_fma_f16 v5, 0xba62, v34, v11 op_sel:[0,0,1] op_sel_hi:[0,1,0] neg_lo:[0,1,0] neg_hi:[0,1,0]
	v_pk_mul_f16 v8, 0x3722, v55 op_sel_hi:[0,1]
	v_pk_add_f16 v3, v6, v3
	v_pk_fma_f16 v6, 0xba62, v34, v11 op_sel:[0,0,1] op_sel_hi:[0,1,0]
	v_add_f16_e32 v4, v44, v4
	v_fmac_f16_e32 v45, 0xbbdd, v37
	v_add_f16_e32 v67, v162, v67
	v_fmac_f16_e32 v165, 0xbbdd, v40
	v_add_f16_e32 v60, v64, v60
	v_mul_f16_e32 v64, 0x3964, v52
	v_pk_add_f16 v68, v73, v68
	v_pk_add_f16 v2, v5, v2
	v_pk_fma_f16 v5, 0x3b29, v38, v8 op_sel:[0,0,1] op_sel_hi:[0,1,0] neg_lo:[0,1,0] neg_hi:[0,1,0]
	v_pk_mul_f16 v25, 0xb461, v56 op_sel_hi:[0,1]
	v_pk_add_f16 v3, v6, v3
	v_pk_fma_f16 v6, 0x3b29, v38, v8 op_sel:[0,0,1] op_sel_hi:[0,1,0]
	v_add_f16_e32 v4, v45, v4
	v_fmac_f16_e32 v62, 0xbacd, v40
	v_mul_f16_sdwa v32, v52, v32 dst_sel:DWORD dst_unused:UNUSED_PAD src0_sel:WORD_1 src1_sel:DWORD
	v_fmac_f16_e32 v148, 0x39e9, v55
	v_add_f16_e32 v67, v165, v67
	v_fmac_f16_e32 v96, 0x2de8, v55
	v_pk_mul_f16 v83, 0xb83635c8, v52
	v_pk_add_f16 v2, v5, v2
	v_pk_fma_f16 v5, 0xbbb2, v53, v25 op_sel:[0,0,1] op_sel_hi:[0,1,0] neg_lo:[0,1,0] neg_hi:[0,1,0]
	v_pk_mul_f16 v27, 0x2de8, v57 op_sel_hi:[0,1]
	v_pk_add_f16 v3, v6, v3
	v_pk_fma_f16 v6, 0xbbb2, v53, v25 op_sel:[0,0,1] op_sel_hi:[0,1,0]
	v_bfi_b32 v28, 0xffff, v64, v68
	v_add_f16_e32 v4, v62, v4
	v_fmac_f16_e32 v35, 0xb461, v55
	v_fma_f16 v84, v57, 0x3b76, -v32
	v_add_f16_e32 v65, v148, v65
	v_fmac_f16_e32 v151, 0xbbdd, v56
	v_add_f16_e32 v67, v96, v67
	v_fmac_f16_e32 v168, 0x3b76, v56
	v_pk_add_f16 v2, v5, v2
	v_pk_fma_f16 v5, 0x3bf7, v52, v27 op_sel:[0,0,1] op_sel_hi:[0,1,0] neg_lo:[0,1,0] neg_hi:[0,1,0]
	v_pk_add_f16 v3, v6, v3
	v_pk_fma_f16 v6, 0x3bf7, v52, v27 op_sel:[0,0,1] op_sel_hi:[0,1,0]
	v_pk_add_f16 v27, v49, v28 neg_lo:[0,1] neg_hi:[0,1]
	v_pk_add_f16 v10, v10, v68
	v_pack_b32_f16 v28, v78, v191
	v_bfi_b32 v15, 0xffff, v15, v83
	v_add_f16_e32 v4, v35, v4
	v_fmac_f16_e32 v76, 0x3722, v56
	v_add_f16_e32 v77, v84, v82
	v_add_f16_e32 v65, v151, v65
	v_fmac_f16_e32 v155, 0x3722, v57
	v_add_f16_e32 v67, v168, v67
	v_fmac_f16_e32 v169, 0xb8d2, v57
	v_pk_add_f16 v2, v5, v2
	v_pk_add_f16 v3, v6, v3
	v_bfi_b32 v5, 0xffff, v27, v10
	v_pk_add_f16 v6, v28, v15
	v_add_f16_e32 v4, v76, v4
	v_fmac_f16_e32 v32, 0x3b76, v57
	v_alignbit_b32 v9, v174, v0, 16
	v_pack_b32_f16 v0, v77, v0
	v_add_f16_e32 v65, v155, v65
	v_pack_b32_f16 v11, v60, v58
	v_pack_b32_f16 v8, v172, v42
	v_add_f16_e32 v67, v169, v67
	v_pack_b32_f16 v25, v51, v50
	v_pack_b32_f16 v29, v48, v54
	v_pk_add_f16 v5, v5, v6
	v_add_f16_e32 v4, v32, v4
	ds_write2_b32 v1, v0, v9 offset0:2 offset1:3
	ds_write2_b32 v1, v8, v11 offset0:4 offset1:5
	;; [unrolled: 1-line block ×3, first 2 shown]
	v_alignbit_b32 v0, v2, v3, 16
	v_alignbit_b32 v2, v3, v2, 16
	v_pack_b32_f16 v3, v65, v12
	v_pack_b32_f16 v6, v39, v26
	;; [unrolled: 1-line block ×3, first 2 shown]
	v_alignbit_b32 v9, v47, v5, 16
	v_pack_b32_f16 v5, v46, v5
	v_pack_b32_f16 v4, v4, v7
	v_perm_b32 v7, v128, v127, 0x5040100
	ds_write2_b32 v1, v2, v0 offset0:8 offset1:9
	ds_write2_b32 v1, v6, v3 offset0:10 offset1:11
	ds_write_b32 v1, v8 offset:48
	ds_write2_b32 v1, v5, v9 offset0:13 offset1:14
	ds_write2_b32 v1, v4, v7 offset0:15 offset1:16
.LBB0_7:
	s_or_b32 exec_lo, exec_lo, s0
	v_and_b32_e32 v0, 0xff, v124
	v_add_co_u32 v58, null, 0x66, v124
	v_add_co_u32 v57, null, 0x99, v124
	v_mul_lo_u16 v0, 0xf1, v0
	v_and_b32_e32 v12, 0xff, v58
	v_add_co_u32 v66, null, 0x198, v124
	v_and_b32_e32 v4, 0xff, v57
	v_lshrrev_b16 v13, 12, v0
	v_and_b32_e32 v0, 0xff, v129
	v_mul_lo_u16 v2, 0xf1, v12
	v_add_co_u32 v65, null, 0x1cb, v124
	v_mul_lo_u16 v1, v13, 17
	v_mul_lo_u16 v0, 0xf1, v0
	v_add_co_u32 v67, null, 0x1fe, v124
	v_mov_b32_e32 v3, 0xf0f1
	v_sub_nc_u16 v45, v124, v1
	v_lshrrev_b16 v15, 12, v0
	v_lshrrev_b16 v49, 12, v2
	v_mul_lo_u16 v2, 0xf1, v4
	v_mul_u32_u24_sdwa v6, v65, v3 dst_sel:DWORD dst_unused:UNUSED_PAD src0_sel:WORD_0 src1_sel:DWORD
	v_lshlrev_b16 v1, 1, v45
	v_mul_lo_u16 v0, v15, 17
	v_mul_lo_u16 v4, v49, 17
	v_lshrrev_b16 v62, 12, v2
	v_mul_u32_u24_sdwa v2, v67, v3 dst_sel:DWORD dst_unused:UNUSED_PAD src0_sel:WORD_0 src1_sel:DWORD
	v_and_b32_e32 v1, 0xfe, v1
	v_sub_nc_u16 v0, v129, v0
	v_lshrrev_b32_e32 v52, 20, v6
	v_mul_lo_u16 v6, v62, 17
	v_lshrrev_b32_e32 v51, 20, v2
	v_add_co_u32 v59, null, 0xcc, v124
	v_and_b32_e32 v46, 0xff, v0
	v_lshlrev_b32_e32 v0, 2, v1
	v_mul_u32_u24_sdwa v1, v66, v3 dst_sel:DWORD dst_unused:UNUSED_PAD src0_sel:WORD_0 src1_sel:DWORD
	v_sub_nc_u16 v2, v57, v6
	v_mul_lo_u16 v6, v51, 17
	v_add_co_u32 v61, null, 0xff, v124
	v_lshrrev_b32_e32 v50, 20, v1
	v_sub_nc_u16 v1, v58, v4
	v_and_b32_e32 v68, 0xff, v2
	v_and_b32_e32 v2, 0xff, v59
	v_sub_nc_u16 v53, v67, v6
	v_mul_lo_u16 v4, v50, 17
	v_and_b32_e32 v71, 0xff, v1
	v_mul_lo_u16 v1, v52, 17
	v_mul_lo_u16 v2, 0xf1, v2
	v_lshlrev_b16 v8, 1, v53
	v_sub_nc_u16 v60, v66, v4
	v_lshlrev_b32_e32 v4, 3, v71
	v_sub_nc_u16 v54, v65, v1
	v_lshrrev_b16 v73, 12, v2
	v_lshlrev_b32_sdwa v2, v14, v8 dst_sel:DWORD dst_unused:UNUSED_PAD src0_sel:DWORD src1_sel:WORD_0
	v_lshlrev_b16 v1, 1, v60
	s_waitcnt lgkmcnt(0)
	v_lshlrev_b16 v6, 1, v54
	s_barrier
	buffer_gl0_inv
	v_lshlrev_b32_sdwa v1, v14, v1 dst_sel:DWORD dst_unused:UNUSED_PAD src0_sel:DWORD src1_sel:WORD_0
	v_add_co_u32 v56, null, 0x132, v124
	v_lshlrev_b32_e32 v5, 3, v46
	v_lshlrev_b32_sdwa v6, v14, v6 dst_sel:DWORD dst_unused:UNUSED_PAD src0_sel:DWORD src1_sel:WORD_0
	s_clause 0x3
	global_load_dwordx2 v[29:30], v1, s[2:3]
	global_load_dwordx2 v[25:26], v2, s[2:3]
	;; [unrolled: 1-line block ×4, first 2 shown]
	v_mul_u32_u24_sdwa v1, v61, v3 dst_sel:DWORD dst_unused:UNUSED_PAD src0_sel:WORD_0 src1_sel:DWORD
	v_add_co_u32 v55, null, 0x165, v124
	s_clause 0x1
	global_load_dwordx2 v[27:28], v6, s[2:3]
	global_load_dwordx2 v[43:44], v5, s[2:3]
	v_mul_u32_u24_sdwa v6, v56, v3 dst_sel:DWORD dst_unused:UNUSED_PAD src0_sel:WORD_0 src1_sel:DWORD
	v_lshrrev_b32_e32 v70, 20, v1
	v_mul_lo_u16 v1, v73, 17
	v_mul_u32_u24_sdwa v2, v55, v3 dst_sel:DWORD dst_unused:UNUSED_PAD src0_sel:WORD_0 src1_sel:DWORD
	v_lshlrev_b32_e32 v7, 3, v68
	v_lshrrev_b32_e32 v64, 20, v6
	v_mul_lo_u16 v3, v70, 17
	v_sub_nc_u16 v0, v59, v1
	v_lshrrev_b32_e32 v63, 20, v2
	global_load_dwordx2 v[39:40], v7, s[2:3]
	v_mul_lo_u16 v1, v64, 17
	v_sub_nc_u16 v74, v61, v3
	v_and_b32_e32 v75, 0xff, v0
	v_mul_lo_u16 v0, v63, 17
	v_add_nc_u32_e32 v103, 0x600, v107
	v_sub_nc_u16 v72, v56, v1
	v_lshlrev_b16 v1, 1, v74
	v_lshlrev_b32_e32 v2, 3, v75
	v_sub_nc_u16 v69, v55, v0
	v_add_nc_u32_e32 v100, 0x1000, v107
	v_lshlrev_b16 v0, 1, v72
	v_lshlrev_b32_sdwa v1, v14, v1 dst_sel:DWORD dst_unused:UNUSED_PAD src0_sel:DWORD src1_sel:WORD_0
	global_load_dwordx2 v[37:38], v2, s[2:3]
	v_add_nc_u32_e32 v89, 0x800, v107
	v_add_nc_u32_e32 v83, 0x1400, v107
	v_lshlrev_b32_sdwa v0, v14, v0 dst_sel:DWORD dst_unused:UNUSED_PAD src0_sel:DWORD src1_sel:WORD_0
	global_load_dwordx2 v[35:36], v1, s[2:3]
	v_lshlrev_b16 v2, 1, v69
	v_add_nc_u32_e32 v101, 0xc00, v107
	v_add_nc_u32_e32 v99, 0x400, v107
	;; [unrolled: 1-line block ×4, first 2 shown]
	v_lshlrev_b32_sdwa v1, v14, v2 dst_sel:DWORD dst_unused:UNUSED_PAD src0_sel:DWORD src1_sel:WORD_0
	s_clause 0x1
	global_load_dwordx2 v[33:34], v0, s[2:3]
	global_load_dwordx2 v[31:32], v1, s[2:3]
	ds_read2_b32 v[10:11], v107 offset1:51
	ds_read2_b32 v[8:9], v107 offset0:102 offset1:153
	ds_read2_b32 v[6:7], v107 offset0:204 offset1:255
	ds_read_b32 v82, v107 offset:6528
	ds_read2_b32 v[0:1], v103 offset0:126 offset1:177
	ds_read2_b32 v[84:85], v100 offset0:98 offset1:149
	;; [unrolled: 1-line block ×13, first 2 shown]
	v_mad_u16 v13, v13, 51, v45
	s_waitcnt vmcnt(0) lgkmcnt(0)
	s_barrier
	buffer_gl0_inv
	v_lshlrev_b32_e32 v57, 3, v57
	v_lshlrev_b32_e32 v56, 3, v56
	v_lshrrev_b32_e32 v140, 16, v82
	v_lshrrev_b32_e32 v141, 16, v1
	v_lshrrev_b32_e32 v144, 16, v85
	v_lshrrev_b32_e32 v145, 16, v87
	v_lshrrev_b32_e32 v146, 16, v90
	v_lshrrev_b32_e32 v143, 16, v86
	v_lshrrev_b32_e32 v150, 16, v94
	v_lshrrev_b32_e32 v153, 16, v97
	v_lshrrev_b32_e32 v151, 16, v96
	v_lshrrev_b32_e32 v156, 16, v106
	v_lshrrev_b32_e32 v155, 16, v131
	v_lshrrev_b32_e32 v152, 16, v95
	v_lshrrev_b32_e32 v160, 16, v134
	v_lshrrev_b32_e32 v159, 16, v135
	v_lshrrev_b32_e32 v157, 16, v132
	v_lshrrev_b32_e32 v98, 16, v11
	v_lshrrev_b32_e32 v154, 16, v105
	v_lshrrev_b32_e32 v79, 16, v5
	v_lshrrev_b32_e32 v158, 16, v133
	v_lshrrev_b32_e32 v161, 16, v136
	v_lshrrev_b32_e32 v142, 16, v84
	v_lshrrev_b32_e32 v137, 16, v8
	v_lshrrev_b32_e32 v147, 16, v92
	v_lshrrev_b32_e32 v148, 16, v91
	v_lshrrev_b32_e32 v78, 16, v2
	v_lshrrev_b32_e32 v77, 16, v3
	v_lshrrev_b32_e32 v149, 16, v93
	v_lshrrev_b32_e32 v88, 16, v10
	v_lshrrev_b32_e32 v76, 16, v0
	v_lshrrev_b32_e32 v138, 16, v9
	v_lshrrev_b32_e32 v139, 16, v6
	v_lshrrev_b32_e32 v80, 16, v7
	v_lshrrev_b32_e32 v81, 16, v4
	v_lshlrev_b32_e32 v66, 3, v66
	v_mul_f16_sdwa v163, v132, v29 dst_sel:DWORD dst_unused:UNUSED_PAD src0_sel:DWORD src1_sel:WORD_1
	v_mul_f16_sdwa v162, v157, v29 dst_sel:DWORD dst_unused:UNUSED_PAD src0_sel:DWORD src1_sel:WORD_1
	;; [unrolled: 1-line block ×14, first 2 shown]
	v_fmac_f16_e32 v179, v143, v43
	v_fmac_f16_e32 v181, v144, v44
	v_fma_f16 v87, v87, v41, -v182
	v_fma_f16 v90, v90, v42, -v184
	v_mul_f16_sdwa v169, v134, v28 dst_sel:DWORD dst_unused:UNUSED_PAD src0_sel:DWORD src1_sel:WORD_1
	v_fmac_f16_e32 v163, v157, v29
	v_fma_f16 v135, v135, v27, -v166
	v_fmac_f16_e32 v167, v159, v27
	v_fma_f16 v134, v134, v28, -v168
	v_fma_f16 v86, v86, v43, -v178
	v_fma_f16 v85, v85, v44, -v180
	v_fmac_f16_e32 v183, v145, v41
	v_fmac_f16_e32 v185, v146, v42
	v_add_f16_e32 v157, v179, v181
	v_add_f16_e32 v159, v87, v90
	v_mul_f16_sdwa v164, v158, v30 dst_sel:DWORD dst_unused:UNUSED_PAD src0_sel:DWORD src1_sel:WORD_1
	v_mul_f16_sdwa v170, v161, v25 dst_sel:DWORD dst_unused:UNUSED_PAD src0_sel:DWORD src1_sel:WORD_1
	;; [unrolled: 1-line block ×11, first 2 shown]
	v_fmac_f16_e32 v165, v158, v30
	v_fmac_f16_e32 v169, v160, v28
	v_fma_f16 v94, v94, v38, -v192
	v_fma_f16 v96, v96, v35, -v194
	v_mul_f16_sdwa v198, v153, v33 dst_sel:DWORD dst_unused:UNUSED_PAD src0_sel:DWORD src1_sel:WORD_1
	v_mul_f16_sdwa v203, v131, v31 dst_sel:DWORD dst_unused:UNUSED_PAD src0_sel:DWORD src1_sel:WORD_1
	;; [unrolled: 1-line block ×6, first 2 shown]
	v_fmac_f16_e32 v203, v155, v31
	v_fmac_f16_e32 v205, v156, v32
	v_mul_f16_sdwa v201, v105, v34 dst_sel:DWORD dst_unused:UNUSED_PAD src0_sel:DWORD src1_sel:WORD_1
	v_fma_f16 v97, v97, v33, -v198
	v_fma_f16 v131, v131, v31, -v202
	;; [unrolled: 1-line block ×3, first 2 shown]
	v_add_f16_e32 v198, v203, v205
	v_mul_f16_sdwa v200, v154, v34 dst_sel:DWORD dst_unused:UNUSED_PAD src0_sel:DWORD src1_sel:WORD_1
	v_fma_f16 v95, v95, v36, -v196
	v_fmac_f16_e32 v199, v153, v33
	v_fmac_f16_e32 v201, v154, v34
	v_add_f16_e32 v146, v135, v134
	v_add_f16_e32 v153, v11, v86
	;; [unrolled: 1-line block ×4, first 2 shown]
	v_sub_f16_e32 v86, v86, v85
	v_add_f16_e32 v158, v8, v87
	v_sub_f16_e32 v160, v183, v185
	v_add_f16_e32 v192, v5, v131
	v_add_f16_e32 v194, v131, v106
	;; [unrolled: 1-line block ×3, first 2 shown]
	v_sub_f16_e32 v131, v131, v106
	v_fmac_f16_e32 v98, -0.5, v157
	v_fma_f16 v8, -0.5, v159, v8
	v_fmac_f16_e32 v79, -0.5, v198
	v_mul_f16_sdwa v174, v141, v47 dst_sel:DWORD dst_unused:UNUSED_PAD src0_sel:DWORD src1_sel:WORD_1
	v_mul_f16_sdwa v175, v1, v47 dst_sel:DWORD dst_unused:UNUSED_PAD src0_sel:DWORD src1_sel:WORD_1
	;; [unrolled: 1-line block ×7, first 2 shown]
	v_fma_f16 v136, v136, v25, -v170
	v_fmac_f16_e32 v171, v161, v25
	v_fma_f16 v82, v82, v26, -v172
	v_fmac_f16_e32 v187, v147, v39
	v_add_f16_e32 v144, v163, v165
	v_add_f16_e32 v145, v3, v135
	;; [unrolled: 1-line block ×4, first 2 shown]
	v_fmac_f16_e32 v3, -0.5, v146
	v_fmac_f16_e32 v11, -0.5, v154
	v_fmamk_f16 v154, v86, 0xbaee, v98
	v_fmac_f16_e32 v98, 0x3aee, v86
	v_fmamk_f16 v86, v160, 0x3aee, v8
	v_fmac_f16_e32 v8, 0xbaee, v160
	;; [unrolled: 2-line block ×3, first 2 shown]
	v_sub_f16_e32 v131, v167, v169
	v_mul_f16_sdwa v191, v93, v37 dst_sel:DWORD dst_unused:UNUSED_PAD src0_sel:DWORD src1_sel:WORD_1
	v_fma_f16 v132, v132, v29, -v162
	v_fma_f16 v133, v133, v30, -v164
	;; [unrolled: 1-line block ×3, first 2 shown]
	v_fmac_f16_e32 v175, v141, v47
	v_fma_f16 v84, v84, v48, -v176
	v_fmac_f16_e32 v177, v142, v48
	v_mul_f16_sdwa v189, v91, v40 dst_sel:DWORD dst_unused:UNUSED_PAD src0_sel:DWORD src1_sel:WORD_1
	v_fmac_f16_e32 v173, v140, v26
	v_fma_f16 v92, v92, v39, -v186
	v_fma_f16 v91, v91, v40, -v188
	v_add_f16_e32 v143, v78, v163
	v_fmac_f16_e32 v78, -0.5, v144
	v_add_f16_e32 v144, v161, v185
	v_add_f16_e32 v161, v77, v167
	v_fmac_f16_e32 v77, -0.5, v147
	v_fmamk_f16 v147, v131, 0x3aee, v3
	v_fmac_f16_e32 v3, 0xbaee, v131
	v_add_f16_e32 v131, v136, v82
	v_mul_f16_sdwa v190, v149, v37 dst_sel:DWORD dst_unused:UNUSED_PAD src0_sel:DWORD src1_sel:WORD_1
	v_fmac_f16_e32 v191, v149, v37
	v_fmac_f16_e32 v197, v152, v36
	v_add_f16_e32 v141, v132, v133
	v_add_f16_e32 v149, v1, v84
	;; [unrolled: 1-line block ×5, first 2 shown]
	v_sub_f16_e32 v134, v135, v134
	v_add_f16_e32 v164, v92, v91
	v_add_f16_e32 v135, v0, v136
	v_fmac_f16_e32 v0, -0.5, v131
	v_sub_f16_e32 v131, v171, v173
	v_fmac_f16_e32 v189, v148, v40
	v_fmac_f16_e32 v193, v150, v38
	v_fmac_f16_e32 v195, v151, v35
	v_add_f16_e32 v140, v2, v132
	v_sub_f16_e32 v142, v163, v165
	v_sub_f16_e32 v132, v132, v133
	v_add_f16_e32 v148, v10, v1
	v_sub_f16_e32 v150, v175, v177
	v_add_f16_e32 v151, v88, v175
	;; [unrolled: 2-line block ×3, first 2 shown]
	v_fma_f16 v2, -0.5, v141, v2
	v_fma_f16 v10, -0.5, v149, v10
	v_fmac_f16_e32 v88, -0.5, v152
	v_fmac_f16_e32 v137, -0.5, v162
	v_fmamk_f16 v162, v134, 0xbaee, v77
	v_fmac_f16_e32 v77, 0x3aee, v134
	v_add_f16_e32 v134, v171, v173
	v_sub_f16_e32 v155, v179, v181
	v_fmac_f16_e32 v9, -0.5, v164
	v_fmamk_f16 v164, v131, 0x3aee, v0
	v_fmac_f16_e32 v0, 0xbaee, v131
	v_lshlrev_b32_sdwa v131, v14, v13 dst_sel:DWORD dst_unused:UNUSED_PAD src0_sel:DWORD src1_sel:BYTE_0
	v_mov_b32_e32 v13, 51
	v_sub_f16_e32 v92, v92, v91
	v_add_f16_e32 v140, v140, v133
	v_add_f16_e32 v84, v148, v84
	;; [unrolled: 1-line block ×5, first 2 shown]
	v_fmamk_f16 v153, v142, 0x3aee, v2
	v_fmac_f16_e32 v2, 0xbaee, v142
	v_fmamk_f16 v142, v132, 0xbaee, v78
	v_fmac_f16_e32 v78, 0x3aee, v132
	;; [unrolled: 2-line block ×3, first 2 shown]
	v_fmamk_f16 v150, v1, 0xbaee, v88
	v_add_f16_e32 v163, v135, v82
	v_add_f16_e32 v135, v76, v171
	v_fmac_f16_e32 v76, -0.5, v134
	v_sub_f16_e32 v82, v136, v82
	v_fmac_f16_e32 v88, 0x3aee, v1
	v_fma_f16 v93, v93, v37, -v190
	v_add_f16_e32 v170, v187, v189
	v_add_f16_e32 v141, v143, v165
	;; [unrolled: 1-line block ×3, first 2 shown]
	v_fmamk_f16 v1, v155, 0x3aee, v11
	v_mul_u32_u24_sdwa v15, v15, v13 dst_sel:DWORD dst_unused:UNUSED_PAD src0_sel:WORD_0 src1_sel:DWORD
	v_sub_f16_e32 v87, v87, v90
	v_fmamk_f16 v165, v82, 0xbaee, v76
	v_fmac_f16_e32 v76, 0x3aee, v82
	v_pack_b32_f16 v82, v84, v133
	v_pack_b32_f16 v84, v132, v150
	;; [unrolled: 1-line block ×3, first 2 shown]
	v_sub_f16_e32 v166, v187, v189
	v_add_f16_e32 v168, v138, v187
	v_add_f16_e32 v174, v93, v94
	;; [unrolled: 1-line block ×3, first 2 shown]
	v_fmac_f16_e32 v138, -0.5, v170
	v_fmac_f16_e32 v11, 0xbaee, v155
	v_add_lshl_u32 v132, v15, v46, 2
	v_pack_b32_f16 v15, v85, v143
	v_pack_b32_f16 v1, v1, v154
	v_add_f16_e32 v90, v158, v90
	v_fmamk_f16 v155, v87, 0xbaee, v137
	ds_write2_b32 v131, v82, v84 offset1:17
	ds_write_b32 v131, v10 offset:136
	v_mul_u32_u24_sdwa v10, v49, v13 dst_sel:DWORD dst_unused:UNUSED_PAD src0_sel:WORD_0 src1_sel:DWORD
	v_fmac_f16_e32 v137, 0x3aee, v87
	v_fma_f16 v105, v105, v34, -v200
	v_add_f16_e32 v172, v6, v93
	v_sub_f16_e32 v175, v191, v193
	v_add_f16_e32 v176, v139, v191
	v_sub_f16_e32 v93, v93, v94
	v_add_f16_e32 v180, v96, v95
	v_add_f16_e32 v184, v195, v197
	;; [unrolled: 1-line block ×3, first 2 shown]
	v_fma_f16 v6, -0.5, v174, v6
	v_fmac_f16_e32 v139, -0.5, v178
	v_fmamk_f16 v87, v166, 0x3aee, v9
	v_fmamk_f16 v156, v92, 0xbaee, v138
	v_pack_b32_f16 v11, v11, v98
	ds_write2_b32 v132, v15, v1 offset1:17
	v_mul_u32_u24_sdwa v1, v62, v13 dst_sel:DWORD dst_unused:UNUSED_PAD src0_sel:WORD_0 src1_sel:DWORD
	v_add_lshl_u32 v133, v10, v71, 2
	v_pack_b32_f16 v10, v90, v144
	v_pack_b32_f16 v46, v86, v155
	;; [unrolled: 1-line block ×3, first 2 shown]
	v_add_f16_e32 v187, v97, v105
	v_add_f16_e32 v191, v199, v201
	v_fmac_f16_e32 v9, 0xbaee, v166
	v_fmac_f16_e32 v138, 0x3aee, v92
	v_add_f16_e32 v179, v7, v96
	v_sub_f16_e32 v182, v195, v197
	v_add_f16_e32 v183, v80, v195
	v_sub_f16_e32 v96, v96, v95
	v_add_f16_e32 v94, v172, v94
	v_add_f16_e32 v148, v176, v193
	v_fmac_f16_e32 v7, -0.5, v180
	v_fmac_f16_e32 v80, -0.5, v184
	v_fmamk_f16 v92, v175, 0x3aee, v6
	v_fmamk_f16 v157, v93, 0xbaee, v139
	ds_write_b32 v132, v11 offset:136
	ds_write2_b32 v133, v10, v46 offset1:17
	ds_write_b32 v133, v8 offset:136
	v_mul_u32_u24_sdwa v8, v73, v13 dst_sel:DWORD dst_unused:UNUSED_PAD src0_sel:WORD_0 src1_sel:DWORD
	v_add_lshl_u32 v134, v1, v68, 2
	v_pack_b32_f16 v1, v91, v146
	v_pack_b32_f16 v10, v87, v156
	v_fmac_f16_e32 v6, 0xbaee, v175
	v_fmac_f16_e32 v139, 0x3aee, v93
	v_add_f16_e32 v186, v4, v97
	v_sub_f16_e32 v188, v199, v201
	v_add_f16_e32 v190, v81, v199
	v_sub_f16_e32 v97, v97, v105
	v_fma_f16 v4, -0.5, v187, v4
	v_fmac_f16_e32 v81, -0.5, v191
	v_pack_b32_f16 v9, v9, v138
	v_add_f16_e32 v95, v179, v95
	v_add_f16_e32 v149, v183, v197
	v_fmamk_f16 v93, v182, 0x3aee, v7
	v_fmamk_f16 v158, v96, 0xbaee, v80
	v_add_f16_e32 v45, v135, v173
	v_add_lshl_u32 v135, v8, v75, 2
	v_pack_b32_f16 v8, v94, v148
	v_pack_b32_f16 v11, v92, v157
	ds_write2_b32 v134, v1, v10 offset1:17
	v_mad_u16 v1, v70, 51, v74
	v_pack_b32_f16 v6, v6, v139
	v_fmac_f16_e32 v7, 0xbaee, v182
	v_fmac_f16_e32 v80, 0x3aee, v96
	v_add_f16_e32 v105, v186, v105
	v_add_f16_e32 v151, v190, v201
	v_fmamk_f16 v96, v188, 0x3aee, v4
	v_fmamk_f16 v159, v97, 0xbaee, v81
	ds_write_b32 v134, v9 offset:136
	ds_write2_b32 v135, v8, v11 offset1:17
	ds_write_b32 v135, v6 offset:136
	v_mad_u16 v6, v64, 51, v72
	v_sub_f16_e32 v195, v203, v205
	v_fmac_f16_e32 v5, -0.5, v194
	v_fmac_f16_e32 v4, 0xbaee, v188
	v_fmac_f16_e32 v81, 0x3aee, v97
	v_lshlrev_b32_sdwa v138, v14, v1 dst_sel:DWORD dst_unused:UNUSED_PAD src0_sel:DWORD src1_sel:WORD_0
	v_pack_b32_f16 v1, v95, v149
	v_pack_b32_f16 v8, v93, v158
	;; [unrolled: 1-line block ×3, first 2 shown]
	v_lshlrev_b32_sdwa v136, v14, v6 dst_sel:DWORD dst_unused:UNUSED_PAD src0_sel:DWORD src1_sel:WORD_0
	v_pack_b32_f16 v6, v105, v151
	v_pack_b32_f16 v9, v96, v159
	v_add_f16_e32 v106, v192, v106
	v_add_f16_e32 v152, v196, v205
	v_fmamk_f16 v97, v195, 0x3aee, v5
	v_pack_b32_f16 v4, v4, v81
	ds_write2_b32 v138, v1, v8 offset1:17
	v_mad_u16 v1, v63, 51, v69
	v_fmac_f16_e32 v5, 0xbaee, v195
	ds_write_b32 v138, v7 offset:136
	ds_write2_b32 v136, v6, v9 offset1:17
	ds_write_b32 v136, v4 offset:136
	v_mad_u16 v4, v50, 51, v60
	v_pack_b32_f16 v6, v97, v160
	v_lshlrev_b32_sdwa v139, v14, v1 dst_sel:DWORD dst_unused:UNUSED_PAD src0_sel:DWORD src1_sel:WORD_0
	v_pack_b32_f16 v1, v106, v152
	v_pack_b32_f16 v5, v5, v79
	v_lshlrev_b32_sdwa v137, v14, v4 dst_sel:DWORD dst_unused:UNUSED_PAD src0_sel:DWORD src1_sel:WORD_0
	v_pack_b32_f16 v4, v140, v141
	v_pack_b32_f16 v7, v153, v142
	;; [unrolled: 1-line block ×3, first 2 shown]
	v_add_f16_e32 v161, v161, v169
	ds_write2_b32 v139, v1, v6 offset1:17
	v_mad_u16 v1, v52, 51, v54
	ds_write_b32 v139, v5 offset:136
	ds_write2_b32 v137, v4, v7 offset1:17
	ds_write_b32 v137, v2 offset:136
	v_mad_u16 v2, v51, 51, v53
	v_pack_b32_f16 v6, v147, v162
	v_pack_b32_f16 v3, v3, v77
	v_lshlrev_b32_sdwa v140, v14, v1 dst_sel:DWORD dst_unused:UNUSED_PAD src0_sel:DWORD src1_sel:WORD_0
	v_pack_b32_f16 v1, v145, v161
	v_lshlrev_b32_sdwa v141, v14, v2 dst_sel:DWORD dst_unused:UNUSED_PAD src0_sel:DWORD src1_sel:WORD_0
	v_pack_b32_f16 v2, v163, v45
	v_pack_b32_f16 v7, v164, v165
	;; [unrolled: 1-line block ×3, first 2 shown]
	ds_write2_b32 v140, v1, v6 offset1:17
	ds_write_b32 v140, v3 offset:136
	ds_write2_b32 v141, v2, v7 offset1:17
	ds_write_b32 v141, v0 offset:136
	v_mul_lo_u16 v6, 0xa1, v12
	v_mad_u64_u32 v[4:5], null, v124, 40, s[2:3]
	s_waitcnt lgkmcnt(0)
	s_barrier
	v_lshrrev_b16 v6, 13, v6
	buffer_gl0_inv
	s_clause 0x2
	global_load_dwordx4 v[0:3], v[4:5], off offset:136
	global_load_dwordx4 v[12:15], v[4:5], off offset:152
	global_load_dwordx2 v[49:50], v[4:5], off offset:168
	v_mul_lo_u16 v4, v6, 51
	v_sub_nc_u16 v4, v58, v4
	v_lshlrev_b32_e32 v58, 3, v58
	v_and_b32_e32 v60, 0xff, v4
	v_mad_u64_u32 v[45:46], null, v60, 40, s[2:3]
	s_clause 0x2
	global_load_dwordx4 v[8:11], v[45:46], off offset:136
	global_load_dwordx4 v[4:7], v[45:46], off offset:152
	global_load_dwordx2 v[45:46], v[45:46], off offset:168
	ds_read2_b32 v[51:52], v107 offset0:102 offset1:153
	ds_read2_b32 v[70:71], v99 offset0:50 offset1:101
	ds_read2_b32 v[75:76], v99 offset0:152 offset1:203
	ds_read2_b32 v[79:80], v89 offset0:100 offset1:151
	ds_read2_b32 v[86:87], v89 offset0:202 offset1:253
	ds_read2_b32 v[90:91], v101 offset0:150 offset1:201
	ds_read2_b32 v[92:93], v102 offset0:124 offset1:175
	ds_read2_b32 v[94:95], v100 offset0:200 offset1:251
	ds_read2_b32 v[96:97], v83 offset0:46 offset1:97
	ds_read2_b32 v[142:143], v104 offset0:122 offset1:173
	ds_read2_b32 v[144:145], v107 offset0:204 offset1:255
	ds_read2_b32 v[146:147], v103 offset0:126 offset1:177
	ds_read2_b32 v[166:167], v101 offset0:48 offset1:99
	ds_read2_b32 v[168:169], v100 offset0:98 offset1:149
	ds_read2_b32 v[53:54], v107 offset1:51
	ds_read2_b32 v[170:171], v83 offset0:148 offset1:199
	ds_read_b32 v72, v107 offset:6528
	s_waitcnt vmcnt(0) lgkmcnt(0)
	s_barrier
	buffer_gl0_inv
	v_lshrrev_b32_e32 v64, 16, v52
	v_lshrrev_b32_e32 v88, 16, v70
	;; [unrolled: 1-line block ×30, first 2 shown]
	v_mul_f16_sdwa v164, v64, v0 dst_sel:DWORD dst_unused:UNUSED_PAD src0_sel:DWORD src1_sel:WORD_1
	v_mul_f16_sdwa v191, v88, v1 dst_sel:DWORD dst_unused:UNUSED_PAD src0_sel:DWORD src1_sel:WORD_1
	;; [unrolled: 1-line block ×5, first 2 shown]
	v_fma_f16 v227, v52, v0, -v164
	v_mul_f16_sdwa v193, v98, v2 dst_sel:DWORD dst_unused:UNUSED_PAD src0_sel:DWORD src1_sel:WORD_1
	v_mul_f16_sdwa v199, v153, v14 dst_sel:DWORD dst_unused:UNUSED_PAD src0_sel:DWORD src1_sel:WORD_1
	;; [unrolled: 1-line block ×3, first 2 shown]
	v_fma_f16 v191, v70, v1, -v191
	v_fmac_f16_e32 v200, v153, v14
	v_fma_f16 v153, v91, v13, -v212
	v_mul_f16_sdwa v190, v52, v0 dst_sel:DWORD dst_unused:UNUSED_PAD src0_sel:DWORD src1_sel:WORD_1
	v_mul_f16_sdwa v194, v76, v2 dst_sel:DWORD dst_unused:UNUSED_PAD src0_sel:DWORD src1_sel:WORD_1
	;; [unrolled: 1-line block ×3, first 2 shown]
	v_fmac_f16_e32 v192, v88, v1
	v_fma_f16 v88, v76, v2, -v193
	v_mul_f16_sdwa v196, v79, v3 dst_sel:DWORD dst_unused:UNUSED_PAD src0_sel:DWORD src1_sel:WORD_1
	v_mul_f16_sdwa v197, v151, v12 dst_sel:DWORD dst_unused:UNUSED_PAD src0_sel:DWORD src1_sel:WORD_1
	v_fmac_f16_e32 v190, v64, v0
	v_fmac_f16_e32 v194, v98, v2
	v_fma_f16 v98, v79, v3, -v195
	v_mul_f16_sdwa v198, v152, v13 dst_sel:DWORD dst_unused:UNUSED_PAD src0_sel:DWORD src1_sel:WORD_1
	v_mul_f16_sdwa v205, v160, v50 dst_sel:DWORD dst_unused:UNUSED_PAD src0_sel:DWORD src1_sel:WORD_1
	;; [unrolled: 1-line block ×7, first 2 shown]
	v_fmac_f16_e32 v196, v148, v3
	v_fma_f16 v148, v87, v12, -v197
	v_fma_f16 v91, v72, v46, -v226
	v_add_f16_e32 v72, v53, v227
	v_fma_f16 v70, v86, v11, -v220
	v_add_f16_sdwa v86, v53, v190 dst_sel:DWORD dst_unused:UNUSED_PAD src0_sel:WORD_1 src1_sel:DWORD
	v_mul_f16_sdwa v85, v90, v13 dst_sel:DWORD dst_unused:UNUSED_PAD src0_sel:DWORD src1_sel:WORD_1
	v_mul_f16_sdwa v203, v157, v49 dst_sel:DWORD dst_unused:UNUSED_PAD src0_sel:DWORD src1_sel:WORD_1
	v_add_f16_e32 v72, v72, v191
	v_mul_f16_sdwa v211, v174, v12 dst_sel:DWORD dst_unused:UNUSED_PAD src0_sel:DWORD src1_sel:WORD_1
	v_mul_f16_sdwa v216, v179, v50 dst_sel:DWORD dst_unused:UNUSED_PAD src0_sel:DWORD src1_sel:WORD_1
	;; [unrolled: 1-line block ×3, first 2 shown]
	v_fma_f16 v90, v90, v13, -v198
	v_add_f16_e32 v72, v72, v88
	v_fma_f16 v142, v142, v50, -v205
	v_fmac_f16_e32 v206, v160, v50
	v_add_f16_e32 v86, v86, v192
	v_mul_f16_sdwa v84, v87, v12 dst_sel:DWORD dst_unused:UNUSED_PAD src0_sel:DWORD src1_sel:WORD_1
	v_add_f16_e32 v72, v72, v98
	v_mul_f16_sdwa v201, v156, v15 dst_sel:DWORD dst_unused:UNUSED_PAD src0_sel:DWORD src1_sel:WORD_1
	v_mul_f16_sdwa v202, v94, v15 dst_sel:DWORD dst_unused:UNUSED_PAD src0_sel:DWORD src1_sel:WORD_1
	;; [unrolled: 1-line block ×4, first 2 shown]
	v_add_f16_e32 v72, v72, v148
	v_mul_f16_sdwa v208, v165, v1 dst_sel:DWORD dst_unused:UNUSED_PAD src0_sel:DWORD src1_sel:WORD_1
	v_mul_f16_sdwa v162, v71, v1 dst_sel:DWORD dst_unused:UNUSED_PAD src0_sel:DWORD src1_sel:WORD_1
	;; [unrolled: 1-line block ×16, first 2 shown]
	v_fmac_f16_e32 v85, v152, v13
	v_fma_f16 v93, v93, v14, -v199
	v_fma_f16 v97, v97, v49, -v203
	;; [unrolled: 1-line block ×5, first 2 shown]
	v_sub_f16_e32 v96, v227, v142
	v_sub_f16_e32 v143, v190, v206
	v_add_f16_e32 v86, v86, v194
	v_add_f16_e32 v72, v72, v90
	v_mul_f16_sdwa v207, v161, v0 dst_sel:DWORD dst_unused:UNUSED_PAD src0_sel:DWORD src1_sel:WORD_1
	v_mul_f16_sdwa v155, v168, v14 dst_sel:DWORD dst_unused:UNUSED_PAD src0_sel:DWORD src1_sel:WORD_1
	;; [unrolled: 1-line block ×14, first 2 shown]
	v_fmac_f16_e32 v84, v151, v12
	v_fma_f16 v94, v94, v15, -v201
	v_fmac_f16_e32 v202, v156, v15
	v_fmac_f16_e32 v204, v157, v49
	;; [unrolled: 1-line block ×3, first 2 shown]
	v_fma_f16 v164, v71, v1, -v208
	v_fmac_f16_e32 v162, v165, v1
	v_fma_f16 v160, v146, v2, -v209
	v_fmac_f16_e32 v158, v172, v2
	;; [unrolled: 2-line block ×3, first 2 shown]
	v_fmac_f16_e32 v105, v174, v12
	v_fma_f16 v157, v168, v14, -v213
	v_fma_f16 v161, v95, v15, -v214
	;; [unrolled: 1-line block ×7, first 2 shown]
	v_add_f16_e32 v92, v227, v142
	v_add_f16_e32 v95, v190, v206
	v_sub_f16_e32 v146, v191, v97
	v_mul_f16_e32 v167, 0xb853, v143
	v_mul_f16_e32 v168, 0xb853, v96
	;; [unrolled: 1-line block ×10, first 2 shown]
	v_add_f16_e32 v86, v86, v196
	v_add_f16_e32 v72, v72, v93
	v_fmac_f16_e32 v155, v176, v14
	v_fma_f16 v87, v145, v8, -v217
	v_fmac_f16_e32 v81, v180, v8
	v_fma_f16 v79, v75, v9, -v218
	;; [unrolled: 2-line block ×3, first 2 shown]
	v_fmac_f16_e32 v73, v182, v10
	v_fmac_f16_e32 v68, v183, v11
	v_fmac_f16_e32 v62, v184, v4
	v_fmac_f16_e32 v63, v185, v5
	v_fmac_f16_e32 v69, v186, v6
	v_fmac_f16_e32 v74, v187, v7
	v_fmac_f16_e32 v78, v188, v45
	v_fmac_f16_e32 v82, v189, v46
	v_add_f16_e32 v145, v192, v204
	v_sub_f16_e32 v147, v192, v204
	v_mul_f16_e32 v176, 0xbb47, v146
	v_fma_f16 v180, v92, 0x3abb, -v167
	v_fmamk_f16 v181, v95, 0x3abb, v168
	v_fmac_f16_e32 v167, 0x3abb, v92
	v_fma_f16 v168, v95, 0x3abb, -v168
	v_fma_f16 v182, v92, 0x36a6, -v169
	v_fmamk_f16 v183, v95, 0x36a6, v170
	v_fmac_f16_e32 v169, 0x36a6, v92
	v_fma_f16 v170, v95, 0x36a6, -v170
	;; [unrolled: 4-line block ×5, first 2 shown]
	v_add_f16_e32 v86, v86, v84
	v_add_f16_e32 v72, v72, v94
	v_fma_f16 v151, v144, v0, -v207
	v_fmac_f16_e32 v159, v177, v15
	v_fmac_f16_e32 v163, v178, v49
	v_add_f16_e32 v144, v191, v97
	v_mul_f16_e32 v177, 0xba0c, v147
	v_mul_f16_e32 v178, 0xba0c, v146
	v_fmamk_f16 v96, v145, 0x36a6, v176
	v_fma_f16 v176, v145, 0x36a6, -v176
	v_add_f16_e32 v180, v53, v180
	v_add_f16_sdwa v181, v53, v181 dst_sel:DWORD dst_unused:UNUSED_PAD src0_sel:WORD_1 src1_sel:DWORD
	v_add_f16_e32 v167, v53, v167
	v_add_f16_sdwa v168, v53, v168 dst_sel:DWORD dst_unused:UNUSED_PAD src0_sel:WORD_1 src1_sel:DWORD
	v_add_f16_e32 v182, v53, v182
	v_add_f16_sdwa v183, v53, v183 dst_sel:DWORD dst_unused:UNUSED_PAD src0_sel:WORD_1 src1_sel:DWORD
	v_add_f16_e32 v169, v53, v169
	v_add_f16_sdwa v170, v53, v170 dst_sel:DWORD dst_unused:UNUSED_PAD src0_sel:WORD_1 src1_sel:DWORD
	v_add_f16_e32 v184, v53, v184
	v_add_f16_sdwa v185, v53, v185 dst_sel:DWORD dst_unused:UNUSED_PAD src0_sel:WORD_1 src1_sel:DWORD
	v_add_f16_e32 v171, v53, v171
	v_add_f16_sdwa v172, v53, v172 dst_sel:DWORD dst_unused:UNUSED_PAD src0_sel:WORD_1 src1_sel:DWORD
	v_add_f16_e32 v186, v53, v186
	v_add_f16_e32 v86, v86, v85
	v_add_f16_sdwa v187, v53, v187 dst_sel:DWORD dst_unused:UNUSED_PAD src0_sel:WORD_1 src1_sel:DWORD
	v_add_f16_e32 v173, v53, v173
	v_add_f16_sdwa v174, v53, v174 dst_sel:DWORD dst_unused:UNUSED_PAD src0_sel:WORD_1 src1_sel:DWORD
	;; [unrolled: 2-line block ×4, first 2 shown]
	v_add_f16_e32 v53, v72, v97
	v_fmac_f16_e32 v106, v175, v13
	v_mul_f16_e32 v175, 0xbb47, v147
	v_fma_f16 v190, v144, 0xb93d, -v177
	v_fmac_f16_e32 v177, 0xb93d, v144
	v_add_f16_e32 v86, v86, v200
	v_add_f16_e32 v97, v176, v168
	;; [unrolled: 1-line block ×3, first 2 shown]
	v_fma_f16 v142, v145, 0xb93d, -v178
	v_mul_f16_e32 v168, 0x3482, v146
	v_fmac_f16_e32 v150, v179, v50
	v_mul_f16_e32 v179, 0x3482, v147
	v_fma_f16 v95, v144, 0x36a6, -v175
	v_fmac_f16_e32 v175, 0x36a6, v144
	v_fmamk_f16 v191, v145, 0xb93d, v178
	v_add_f16_e32 v86, v86, v202
	v_add_f16_e32 v169, v177, v169
	;; [unrolled: 1-line block ×3, first 2 shown]
	v_fmamk_f16 v170, v145, 0xbbad, v168
	v_mul_f16_e32 v177, 0x3beb, v147
	v_fma_f16 v168, v145, 0xbbad, -v168
	v_mul_f16_e32 v178, 0x3beb, v146
	v_add_f16_e32 v95, v95, v180
	v_add_f16_e32 v72, v86, v204
	;; [unrolled: 1-line block ×3, first 2 shown]
	v_fma_f16 v175, v144, 0xbbad, -v179
	v_fmac_f16_e32 v179, 0xbbad, v144
	v_fma_f16 v180, v144, 0xb08e, -v177
	v_add_f16_e32 v168, v168, v172
	v_mul_f16_e32 v147, 0x3853, v147
	v_fmamk_f16 v172, v145, 0xb08e, v178
	v_fma_f16 v178, v145, 0xb08e, -v178
	v_add_f16_e32 v171, v179, v171
	v_add_f16_e32 v179, v180, v186
	v_fmac_f16_e32 v177, 0xb08e, v144
	v_fma_f16 v180, v144, 0x3abb, -v147
	v_mul_f16_e32 v146, 0x3853, v146
	v_add_f16_e32 v174, v178, v174
	v_sub_f16_e32 v178, v194, v202
	v_fmac_f16_e32 v147, 0x3abb, v144
	v_sub_f16_e32 v144, v88, v94
	v_add_f16_e32 v96, v96, v181
	v_add_f16_e32 v173, v177, v173
	;; [unrolled: 1-line block ×3, first 2 shown]
	v_fmamk_f16 v180, v145, 0x3abb, v146
	v_add_f16_e32 v88, v88, v94
	v_mul_f16_e32 v94, 0xbbeb, v178
	v_fma_f16 v145, v145, 0x3abb, -v146
	v_add_f16_e32 v146, v194, v202
	v_mul_f16_e32 v181, 0xbbeb, v144
	v_add_f16_e32 v167, v190, v182
	v_fma_f16 v182, v88, 0xb08e, -v94
	v_add_f16_e32 v143, v147, v143
	v_add_f16_e32 v92, v145, v92
	v_fmamk_f16 v145, v146, 0xb08e, v181
	v_mul_f16_e32 v147, 0x3482, v178
	v_fmac_f16_e32 v94, 0xb08e, v88
	v_fma_f16 v181, v146, 0xb08e, -v181
	v_add_f16_e32 v95, v182, v95
	v_add_f16_e32 v96, v145, v96
	v_fma_f16 v145, v88, 0xbbad, -v147
	v_mul_f16_e32 v182, 0x3482, v144
	v_add_f16_e32 v86, v94, v86
	v_add_f16_e32 v94, v181, v97
	v_mul_f16_e32 v97, 0x3b47, v178
	v_add_f16_e32 v176, v191, v183
	v_add_f16_e32 v175, v175, v184
	;; [unrolled: 1-line block ×3, first 2 shown]
	v_fmamk_f16 v167, v146, 0xbbad, v182
	v_fmac_f16_e32 v147, 0xbbad, v88
	v_fma_f16 v181, v146, 0xbbad, -v182
	v_fma_f16 v182, v88, 0x36a6, -v97
	v_mul_f16_e32 v183, 0x3b47, v144
	v_add_f16_e32 v170, v170, v185
	v_add_f16_e32 v167, v167, v176
	;; [unrolled: 1-line block ×4, first 2 shown]
	v_fmamk_f16 v175, v146, 0x36a6, v183
	v_mul_f16_e32 v176, 0xb853, v178
	v_fmac_f16_e32 v97, 0x36a6, v88
	v_mul_f16_e32 v182, 0xb853, v144
	v_add_f16_e32 v172, v172, v187
	v_add_f16_e32 v170, v175, v170
	v_fma_f16 v175, v88, 0x3abb, -v176
	v_add_f16_e32 v97, v97, v171
	v_fmamk_f16 v171, v146, 0x3abb, v182
	v_mul_f16_e32 v178, 0xba0c, v178
	v_fmac_f16_e32 v176, 0x3abb, v88
	v_add_f16_e32 v175, v175, v179
	v_fma_f16 v179, v146, 0x3abb, -v182
	v_add_f16_e32 v171, v171, v172
	v_fma_f16 v172, v88, 0xb93d, -v178
	v_mul_f16_e32 v144, 0xba0c, v144
	v_add_f16_e32 v173, v176, v173
	v_add_f16_e32 v174, v179, v174
	v_sub_f16_e32 v176, v196, v200
	v_add_f16_e32 v179, v98, v93
	v_sub_f16_e32 v93, v98, v93
	v_add_f16_e32 v142, v181, v142
	v_fma_f16 v181, v146, 0x36a6, -v183
	v_add_f16_e32 v172, v172, v177
	v_fmamk_f16 v177, v146, 0xb93d, v144
	v_mul_f16_e32 v98, 0xba0c, v176
	v_fmac_f16_e32 v178, 0xb93d, v88
	v_fma_f16 v88, v146, 0xb93d, -v144
	v_add_f16_e32 v144, v196, v200
	v_mul_f16_e32 v146, 0xba0c, v93
	v_add_f16_e32 v180, v180, v189
	v_add_f16_e32 v168, v181, v168
	v_fma_f16 v181, v179, 0xb93d, -v98
	v_add_f16_e32 v143, v178, v143
	v_add_f16_e32 v88, v88, v92
	v_fmamk_f16 v92, v144, 0xb93d, v146
	v_mul_f16_e32 v178, 0x3beb, v176
	v_fmac_f16_e32 v98, 0xb93d, v179
	v_add_f16_e32 v177, v177, v180
	v_fma_f16 v146, v144, 0xb93d, -v146
	v_add_f16_e32 v92, v92, v96
	v_mul_f16_e32 v96, 0x3beb, v93
	v_fma_f16 v180, v179, 0xb08e, -v178
	v_add_f16_e32 v86, v98, v86
	v_mul_f16_e32 v98, 0xb853, v176
	v_add_f16_e32 v94, v146, v94
	v_fmamk_f16 v146, v144, 0xb08e, v96
	v_add_f16_e32 v145, v180, v145
	v_fma_f16 v96, v144, 0xb08e, -v96
	v_fma_f16 v180, v179, 0x3abb, -v98
	v_fmac_f16_e32 v178, 0xb08e, v179
	v_add_f16_e32 v146, v146, v167
	v_mul_f16_e32 v167, 0xb853, v93
	v_add_f16_e32 v96, v96, v142
	v_add_f16_e32 v142, v180, v169
	v_mul_f16_e32 v169, 0xb482, v176
	v_add_f16_e32 v95, v181, v95
	v_add_f16_e32 v147, v178, v147
	v_fmamk_f16 v178, v144, 0x3abb, v167
	v_fma_f16 v167, v144, 0x3abb, -v167
	v_fma_f16 v181, v179, 0xbbad, -v169
	v_fmac_f16_e32 v98, 0x3abb, v179
	v_mul_f16_e32 v180, 0xb482, v93
	v_fmac_f16_e32 v169, 0xbbad, v179
	v_add_f16_e32 v167, v167, v168
	v_add_f16_e32 v168, v181, v175
	v_mul_f16_e32 v175, 0x3b47, v176
	v_add_f16_e32 v98, v98, v97
	v_fmamk_f16 v97, v144, 0xbbad, v180
	v_mul_f16_e32 v93, 0x3b47, v93
	v_add_f16_e32 v170, v178, v170
	v_fma_f16 v176, v179, 0x36a6, -v175
	v_add_f16_e32 v169, v169, v173
	v_add_f16_e32 v171, v97, v171
	v_fma_f16 v97, v144, 0xbbad, -v180
	v_sub_f16_e32 v173, v84, v85
	v_fmamk_f16 v178, v144, 0x36a6, v93
	v_add_f16_e32 v172, v176, v172
	v_add_f16_e32 v176, v148, v90
	v_sub_f16_e32 v148, v148, v90
	v_add_f16_e32 v174, v97, v174
	v_mul_f16_e32 v97, 0xb482, v173
	v_add_f16_e32 v177, v178, v177
	v_fma_f16 v90, v144, 0x36a6, -v93
	v_add_f16_e32 v178, v84, v85
	v_mul_f16_e32 v84, 0xb482, v148
	v_fmac_f16_e32 v175, 0x36a6, v179
	v_fma_f16 v93, v176, 0xbbad, -v97
	v_add_f16_e32 v179, v90, v88
	v_fmac_f16_e32 v97, 0xbbad, v176
	v_fma_f16 v90, v178, 0xbbad, -v84
	v_add_f16_e32 v175, v175, v143
	v_add_f16_e32 v85, v93, v95
	v_mul_f16_e32 v93, 0x3853, v173
	v_fmamk_f16 v88, v178, 0xbbad, v84
	v_mul_f16_e32 v143, 0x3853, v148
	v_add_f16_e32 v84, v97, v86
	v_add_f16_e32 v86, v90, v94
	v_mul_f16_e32 v94, 0xba0c, v173
	v_fma_f16 v95, v176, 0x3abb, -v93
	v_add_f16_e32 v88, v88, v92
	v_fmamk_f16 v92, v178, 0x3abb, v143
	v_mul_f16_e32 v144, 0xba0c, v148
	v_fmac_f16_e32 v93, 0x3abb, v176
	v_fma_f16 v97, v178, 0x3abb, -v143
	v_fma_f16 v143, v176, 0xb93d, -v94
	v_add_f16_e32 v90, v95, v145
	v_add_f16_e32 v95, v92, v146
	v_fmamk_f16 v145, v178, 0xb93d, v144
	v_fmac_f16_e32 v94, 0xb93d, v176
	v_add_f16_e32 v92, v93, v147
	v_add_f16_e32 v93, v97, v96
	;; [unrolled: 1-line block ×6, first 2 shown]
	v_fma_f16 v98, v178, 0xb93d, -v144
	v_add_f16_sdwa v143, v54, v149 dst_sel:DWORD dst_unused:UNUSED_PAD src0_sel:WORD_1 src1_sel:DWORD
	v_mul_f16_e32 v145, 0x3b47, v173
	v_add_f16_e32 v142, v142, v164
	v_mul_f16_e32 v146, 0x3b47, v148
	v_add_f16_e32 v98, v98, v167
	v_add_f16_e32 v143, v143, v162
	v_fma_f16 v144, v176, 0x36a6, -v145
	v_fmac_f16_e32 v145, 0x36a6, v176
	v_add_f16_e32 v167, v142, v160
	v_fmamk_f16 v147, v178, 0x36a6, v146
	v_add_f16_e32 v170, v143, v158
	v_add_f16_e32 v143, v144, v168
	;; [unrolled: 1-line block ×6, first 2 shown]
	v_fma_f16 v146, v178, 0x36a6, -v146
	v_mul_f16_e32 v167, 0xbbeb, v173
	v_mul_f16_e32 v168, 0xbbeb, v148
	v_add_f16_e32 v148, v145, v152
	v_add_f16_e32 v147, v147, v105
	;; [unrolled: 1-line block ×3, first 2 shown]
	v_fma_f16 v146, v176, 0xb08e, -v167
	v_fmamk_f16 v169, v178, 0xb08e, v168
	v_add_f16_e32 v148, v148, v153
	v_fmac_f16_e32 v167, 0xb08e, v176
	v_add_f16_e32 v170, v147, v106
	v_add_f16_e32 v146, v146, v172
	;; [unrolled: 1-line block ×5, first 2 shown]
	v_sub_f16_e32 v167, v149, v150
	v_add_f16_e32 v170, v170, v155
	v_add_f16_e32 v171, v151, v166
	;; [unrolled: 1-line block ×3, first 2 shown]
	v_sub_f16_e32 v173, v151, v166
	v_mul_f16_e32 v172, 0xb853, v167
	v_add_f16_e32 v170, v170, v159
	v_fma_f16 v168, v178, 0xb08e, -v168
	v_add_f16_e32 v169, v169, v165
	v_add_f16_e32 v174, v149, v150
	v_fma_f16 v175, v171, 0x3abb, -v172
	v_add_f16_e32 v170, v170, v163
	v_mul_f16_e32 v176, 0xb853, v173
	v_add_f16_e32 v149, v169, v166
	v_mul_f16_e32 v169, 0xbb47, v167
	;; [unrolled: 2-line block ×3, first 2 shown]
	v_mul_f16_e32 v178, 0xbbeb, v167
	v_mul_f16_e32 v180, 0xbbeb, v173
	;; [unrolled: 1-line block ×6, first 2 shown]
	v_sub_f16_e32 v188, v162, v163
	v_add_f16_e32 v189, v164, v165
	v_sub_f16_e32 v164, v164, v165
	v_add_f16_e32 v151, v168, v179
	v_add_f16_e32 v150, v170, v150
	v_fmamk_f16 v168, v174, 0x3abb, v176
	v_fmac_f16_e32 v172, 0x3abb, v171
	v_fma_f16 v170, v174, 0x3abb, -v176
	v_fma_f16 v176, v171, 0x36a6, -v169
	v_fmamk_f16 v177, v174, 0x36a6, v175
	v_fmac_f16_e32 v169, 0x36a6, v171
	v_fma_f16 v175, v174, 0x36a6, -v175
	v_fma_f16 v179, v171, 0xb08e, -v178
	;; [unrolled: 4-line block ×4, first 2 shown]
	v_fmamk_f16 v187, v174, 0xbbad, v173
	v_mul_f16_e32 v165, 0xbb47, v188
	v_fmac_f16_e32 v167, 0xbbad, v171
	v_fma_f16 v171, v174, 0xbbad, -v173
	v_add_f16_e32 v162, v162, v163
	v_mul_f16_e32 v163, 0xbb47, v164
	v_add_f16_sdwa v168, v54, v168 dst_sel:DWORD dst_unused:UNUSED_PAD src0_sel:WORD_1 src1_sel:DWORD
	v_add_f16_e32 v172, v54, v172
	v_add_f16_sdwa v170, v54, v170 dst_sel:DWORD dst_unused:UNUSED_PAD src0_sel:WORD_1 src1_sel:DWORD
	v_add_f16_e32 v176, v54, v176
	;; [unrolled: 2-line block ×8, first 2 shown]
	v_add_f16_sdwa v187, v54, v187 dst_sel:DWORD dst_unused:UNUSED_PAD src0_sel:WORD_1 src1_sel:DWORD
	v_fma_f16 v173, v189, 0x36a6, -v165
	v_add_f16_e32 v167, v54, v167
	v_add_f16_sdwa v54, v54, v171 dst_sel:DWORD dst_unused:UNUSED_PAD src0_sel:WORD_1 src1_sel:DWORD
	v_mul_f16_e32 v171, 0xba0c, v188
	v_fmamk_f16 v174, v162, 0x36a6, v163
	v_add_f16_e32 v166, v173, v166
	v_fmac_f16_e32 v165, 0x36a6, v189
	v_fma_f16 v163, v162, 0x36a6, -v163
	v_fma_f16 v173, v189, 0xb93d, -v171
	v_add_f16_e32 v168, v174, v168
	v_mul_f16_e32 v174, 0xba0c, v164
	v_add_f16_e32 v165, v165, v172
	v_add_f16_e32 v163, v163, v170
	;; [unrolled: 1-line block ×3, first 2 shown]
	v_mul_f16_e32 v172, 0x3482, v188
	v_fmamk_f16 v173, v162, 0xb93d, v174
	v_fmac_f16_e32 v171, 0xb93d, v189
	v_fma_f16 v174, v162, 0xb93d, -v174
	v_mul_f16_e32 v176, 0x3482, v164
	v_fma_f16 v190, v189, 0xbbad, -v172
	v_add_f16_e32 v173, v173, v177
	v_add_f16_e32 v169, v171, v169
	;; [unrolled: 1-line block ×3, first 2 shown]
	v_fmamk_f16 v174, v162, 0xbbad, v176
	v_mul_f16_e32 v177, 0x3beb, v188
	v_fmac_f16_e32 v172, 0xbbad, v189
	v_add_f16_e32 v175, v190, v179
	v_fma_f16 v176, v162, 0xbbad, -v176
	v_add_f16_e32 v174, v174, v182
	v_mul_f16_e32 v179, 0x3beb, v164
	v_fma_f16 v182, v189, 0xb08e, -v177
	v_add_f16_e32 v172, v172, v178
	v_mul_f16_e32 v178, 0x3853, v188
	v_add_f16_e32 v176, v176, v180
	v_fmamk_f16 v180, v162, 0xb08e, v179
	v_add_f16_e32 v182, v182, v183
	v_fmac_f16_e32 v177, 0xb08e, v189
	v_fma_f16 v183, v189, 0x3abb, -v178
	v_fma_f16 v179, v162, 0xb08e, -v179
	v_add_f16_e32 v180, v180, v185
	v_mul_f16_e32 v164, 0x3853, v164
	v_add_f16_e32 v177, v177, v181
	v_add_f16_e32 v181, v183, v186
	v_sub_f16_e32 v183, v158, v159
	v_sub_f16_e32 v185, v160, v161
	v_add_f16_e32 v179, v179, v184
	v_fmamk_f16 v184, v162, 0x3abb, v164
	v_fmac_f16_e32 v178, 0x3abb, v189
	v_add_f16_e32 v160, v160, v161
	v_mul_f16_e32 v161, 0xbbeb, v183
	v_fma_f16 v162, v162, 0x3abb, -v164
	v_add_f16_e32 v158, v158, v159
	v_mul_f16_e32 v159, 0xbbeb, v185
	v_add_f16_e32 v164, v184, v187
	v_fma_f16 v184, v160, 0xb08e, -v161
	v_add_f16_e32 v167, v178, v167
	v_add_f16_e32 v54, v162, v54
	v_fmamk_f16 v162, v158, 0xb08e, v159
	v_mul_f16_e32 v178, 0x3482, v183
	v_fma_f16 v159, v158, 0xb08e, -v159
	v_add_f16_e32 v166, v184, v166
	v_fmac_f16_e32 v161, 0xb08e, v160
	v_add_f16_e32 v162, v162, v168
	v_fma_f16 v168, v160, 0xbbad, -v178
	v_mul_f16_e32 v184, 0x3482, v185
	v_add_f16_e32 v159, v159, v163
	v_mul_f16_e32 v163, 0x3b47, v183
	v_add_f16_e32 v161, v161, v165
	v_add_f16_e32 v165, v168, v170
	v_fmamk_f16 v168, v158, 0xbbad, v184
	v_fma_f16 v170, v158, 0xbbad, -v184
	v_fma_f16 v184, v160, 0x36a6, -v163
	v_mul_f16_e32 v186, 0x3b47, v185
	v_fmac_f16_e32 v178, 0xbbad, v160
	v_add_f16_e32 v168, v168, v173
	v_add_f16_e32 v170, v170, v171
	;; [unrolled: 1-line block ×3, first 2 shown]
	v_fmamk_f16 v173, v158, 0x36a6, v186
	v_mul_f16_e32 v175, 0xb853, v183
	v_mul_f16_e32 v184, 0xb853, v185
	v_add_f16_e32 v169, v178, v169
	v_fmac_f16_e32 v163, 0x36a6, v160
	v_add_f16_e32 v173, v173, v174
	v_fma_f16 v174, v160, 0x3abb, -v175
	v_fma_f16 v178, v158, 0x36a6, -v186
	v_fmac_f16_e32 v175, 0x3abb, v160
	v_add_f16_e32 v163, v163, v172
	v_sub_f16_e32 v188, v77, v78
	v_add_f16_e32 v174, v174, v182
	v_fma_f16 v182, v158, 0x3abb, -v184
	v_add_f16_e32 v172, v178, v176
	v_fmamk_f16 v176, v158, 0x3abb, v184
	v_mul_f16_e32 v178, 0xba0c, v183
	v_add_f16_e32 v175, v175, v177
	v_add_f16_e32 v177, v182, v179
	v_sub_f16_e32 v179, v154, v155
	v_add_f16_e32 v176, v176, v180
	v_fma_f16 v180, v160, 0xb93d, -v178
	v_mul_f16_e32 v183, 0xba0c, v185
	v_add_f16_e32 v182, v156, v157
	v_sub_f16_e32 v156, v156, v157
	v_mul_f16_e32 v157, 0xba0c, v179
	v_add_f16_e32 v180, v180, v181
	v_fmamk_f16 v181, v158, 0xb93d, v183
	v_fmac_f16_e32 v178, 0xb93d, v160
	v_fma_f16 v158, v158, 0xb93d, -v183
	v_add_f16_e32 v154, v154, v155
	v_mul_f16_e32 v155, 0xba0c, v156
	v_fma_f16 v160, v182, 0xb93d, -v157
	v_add_f16_e32 v167, v178, v167
	v_add_f16_e32 v54, v158, v54
	v_fmac_f16_e32 v157, 0xb93d, v182
	v_fmamk_f16 v158, v154, 0xb93d, v155
	v_add_f16_e32 v160, v160, v166
	v_mul_f16_e32 v166, 0x3beb, v179
	v_fma_f16 v155, v154, 0xb93d, -v155
	v_add_f16_e32 v157, v157, v161
	v_add_f16_e32 v158, v158, v162
	v_mul_f16_e32 v162, 0x3beb, v156
	v_fma_f16 v178, v182, 0xb08e, -v166
	v_add_f16_e32 v155, v155, v159
	v_mul_f16_e32 v159, 0xb853, v179
	v_fmac_f16_e32 v166, 0xb08e, v182
	v_fmamk_f16 v161, v154, 0xb08e, v162
	v_add_f16_e32 v165, v178, v165
	v_fma_f16 v162, v154, 0xb08e, -v162
	v_fma_f16 v178, v182, 0x3abb, -v159
	v_add_f16_e32 v166, v166, v169
	v_add_f16_e32 v161, v161, v168
	v_mul_f16_e32 v168, 0xb853, v156
	v_add_f16_e32 v162, v162, v170
	v_add_f16_e32 v169, v178, v171
	v_mul_f16_e32 v170, 0xb482, v179
	v_fmac_f16_e32 v159, 0x3abb, v182
	v_mul_f16_e32 v178, 0xb482, v156
	v_add_f16_e32 v164, v181, v164
	v_fmamk_f16 v171, v154, 0x3abb, v168
	v_fma_f16 v168, v154, 0x3abb, -v168
	v_fma_f16 v181, v182, 0xbbad, -v170
	v_add_f16_e32 v163, v159, v163
	v_fmamk_f16 v159, v154, 0xbbad, v178
	v_fmac_f16_e32 v170, 0xbbad, v182
	v_mul_f16_e32 v156, 0x3b47, v156
	v_add_f16_e32 v171, v171, v173
	v_add_f16_e32 v168, v168, v172
	;; [unrolled: 1-line block ×3, first 2 shown]
	v_mul_f16_e32 v173, 0x3b47, v179
	v_add_f16_e32 v174, v159, v176
	v_fma_f16 v159, v154, 0xbbad, -v178
	v_add_f16_e32 v170, v170, v175
	v_sub_f16_e32 v175, v105, v106
	v_fmamk_f16 v178, v154, 0x36a6, v156
	v_fma_f16 v176, v182, 0x36a6, -v173
	v_add_f16_e32 v177, v159, v177
	v_add_f16_e32 v179, v152, v153
	v_mul_f16_e32 v159, 0xb482, v175
	v_add_f16_e32 v178, v178, v164
	v_sub_f16_e32 v164, v152, v153
	v_add_f16_e32 v176, v176, v180
	v_fmac_f16_e32 v173, 0x36a6, v182
	v_fma_f16 v152, v154, 0x36a6, -v156
	v_fma_f16 v153, v179, 0xbbad, -v159
	v_add_f16_e32 v180, v105, v106
	v_mul_f16_e32 v105, 0xb482, v164
	v_mul_f16_e32 v154, 0x3853, v175
	v_add_f16_e32 v167, v173, v167
	v_add_f16_e32 v173, v152, v54
	;; [unrolled: 1-line block ×3, first 2 shown]
	v_fmamk_f16 v54, v180, 0xbbad, v105
	v_fmac_f16_e32 v159, 0xbbad, v179
	v_mul_f16_e32 v156, 0x3853, v164
	v_fma_f16 v105, v180, 0xbbad, -v105
	v_fma_f16 v153, v179, 0x3abb, -v154
	v_mul_f16_e32 v160, 0xba0c, v175
	v_add_f16_e32 v152, v54, v158
	v_add_f16_e32 v54, v159, v157
	v_fmamk_f16 v157, v180, 0x3abb, v156
	v_add_f16_e32 v105, v105, v155
	v_add_f16_e32 v153, v153, v165
	v_mul_f16_e32 v165, 0xba0c, v164
	v_fma_f16 v155, v180, 0x3abb, -v156
	v_fma_f16 v156, v179, 0xb93d, -v160
	v_fmac_f16_e32 v160, 0xb93d, v179
	v_add_f16_e32 v157, v157, v161
	v_fmac_f16_e32 v154, 0x3abb, v179
	v_add_f16_e32 v155, v155, v162
	v_add_f16_e32 v158, v156, v169
	;; [unrolled: 1-line block ×3, first 2 shown]
	v_mul_f16_e32 v162, 0x3b47, v175
	v_fma_f16 v160, v180, 0xb93d, -v165
	v_add_f16_e32 v161, v51, v87
	v_fmamk_f16 v159, v180, 0xb93d, v165
	v_add_f16_e32 v154, v154, v166
	v_add_f16_sdwa v163, v51, v81 dst_sel:DWORD dst_unused:UNUSED_PAD src0_sel:WORD_1 src1_sel:DWORD
	v_mul_f16_e32 v165, 0x3b47, v164
	v_fma_f16 v166, v179, 0x36a6, -v162
	v_add_f16_e32 v160, v160, v168
	v_add_f16_e32 v168, v161, v79
	;; [unrolled: 1-line block ×3, first 2 shown]
	v_fmamk_f16 v169, v180, 0x36a6, v165
	v_add_f16_e32 v161, v166, v172
	v_fmac_f16_e32 v162, 0x36a6, v179
	v_add_f16_e32 v166, v168, v75
	v_add_f16_e32 v168, v163, v73
	;; [unrolled: 1-line block ×3, first 2 shown]
	v_mul_f16_e32 v169, 0xbbeb, v175
	v_add_f16_e32 v159, v159, v171
	v_add_f16_e32 v166, v166, v70
	;; [unrolled: 1-line block ×4, first 2 shown]
	v_fma_f16 v165, v180, 0x36a6, -v165
	v_fma_f16 v170, v179, 0xb08e, -v169
	v_mul_f16_e32 v171, 0xbbeb, v164
	v_add_f16_e32 v166, v166, v52
	v_add_f16_e32 v168, v168, v62
	;; [unrolled: 1-line block ×4, first 2 shown]
	v_fmamk_f16 v170, v180, 0xb08e, v171
	v_add_f16_e32 v172, v166, v64
	v_add_f16_e32 v168, v168, v63
	v_fmac_f16_e32 v169, 0xb08e, v179
	v_fma_f16 v171, v180, 0xb08e, -v171
	v_add_f16_e32 v166, v170, v178
	v_add_f16_e32 v170, v172, v71
	;; [unrolled: 1-line block ×4, first 2 shown]
	v_sub_f16_e32 v169, v81, v82
	v_add_f16_e32 v168, v171, v173
	v_add_f16_e32 v170, v170, v76
	;; [unrolled: 1-line block ×4, first 2 shown]
	v_mul_f16_e32 v173, 0xb853, v169
	v_sub_f16_e32 v87, v87, v91
	v_add_f16_e32 v170, v170, v80
	v_add_f16_e32 v171, v171, v78
	;; [unrolled: 1-line block ×3, first 2 shown]
	v_fma_f16 v176, v172, 0x3abb, -v173
	v_mul_f16_e32 v178, 0xbbeb, v169
	v_add_f16_e32 v81, v170, v91
	v_mul_f16_e32 v91, 0xbb47, v169
	v_mul_f16_e32 v183, 0xba0c, v169
	;; [unrolled: 1-line block ×4, first 2 shown]
	v_add_f16_e32 v82, v171, v82
	v_add_f16_e32 v171, v51, v176
	v_fmac_f16_e32 v173, 0x3abb, v172
	v_fma_f16 v176, v172, 0x36a6, -v91
	v_mul_f16_e32 v177, 0xbb47, v87
	v_fmac_f16_e32 v91, 0x36a6, v172
	v_mul_f16_e32 v180, 0xbbeb, v87
	v_fma_f16 v181, v172, 0xb08e, -v178
	v_fmac_f16_e32 v178, 0xb08e, v172
	v_mul_f16_e32 v184, 0xba0c, v87
	v_fma_f16 v185, v172, 0xb93d, -v183
	v_fmac_f16_e32 v183, 0xb93d, v172
	v_fma_f16 v187, v172, 0xbbad, -v169
	v_mul_f16_e32 v87, 0xb482, v87
	v_fmac_f16_e32 v169, 0xbbad, v172
	v_sub_f16_e32 v172, v79, v80
	v_fmamk_f16 v170, v174, 0x3abb, v175
	v_fma_f16 v175, v174, 0x3abb, -v175
	v_fmamk_f16 v179, v174, 0x36a6, v177
	v_fma_f16 v177, v174, 0x36a6, -v177
	;; [unrolled: 2-line block ×4, first 2 shown]
	v_fmamk_f16 v189, v174, 0xbbad, v87
	v_add_f16_e32 v79, v79, v80
	v_mul_f16_e32 v80, 0xbb47, v188
	v_fma_f16 v87, v174, 0xbbad, -v87
	v_add_f16_e32 v77, v77, v78
	v_mul_f16_e32 v78, 0xbb47, v172
	v_add_f16_sdwa v170, v51, v170 dst_sel:DWORD dst_unused:UNUSED_PAD src0_sel:WORD_1 src1_sel:DWORD
	v_add_f16_e32 v173, v51, v173
	v_add_f16_sdwa v175, v51, v175 dst_sel:DWORD dst_unused:UNUSED_PAD src0_sel:WORD_1 src1_sel:DWORD
	v_add_f16_e32 v176, v51, v176
	;; [unrolled: 2-line block ×8, first 2 shown]
	v_add_f16_sdwa v174, v51, v189 dst_sel:DWORD dst_unused:UNUSED_PAD src0_sel:WORD_1 src1_sel:DWORD
	v_fma_f16 v189, v79, 0x36a6, -v80
	v_add_f16_e32 v169, v51, v169
	v_add_f16_sdwa v51, v51, v87 dst_sel:DWORD dst_unused:UNUSED_PAD src0_sel:WORD_1 src1_sel:DWORD
	v_fmamk_f16 v87, v77, 0x36a6, v78
	v_mul_f16_e32 v190, 0xba0c, v188
	v_fmac_f16_e32 v80, 0x36a6, v79
	v_add_f16_e32 v171, v189, v171
	v_fma_f16 v78, v77, 0x36a6, -v78
	v_add_f16_e32 v87, v87, v170
	v_fma_f16 v170, v79, 0xb93d, -v190
	v_mul_f16_e32 v189, 0xba0c, v172
	v_add_f16_e32 v80, v80, v173
	v_mul_f16_e32 v173, 0x3482, v188
	v_add_f16_e32 v78, v78, v175
	v_add_f16_e32 v170, v170, v176
	v_fmamk_f16 v175, v77, 0xb93d, v189
	v_fma_f16 v176, v77, 0xb93d, -v189
	v_fma_f16 v189, v79, 0xbbad, -v173
	v_mul_f16_e32 v191, 0x3482, v172
	v_fmac_f16_e32 v173, 0xbbad, v79
	v_add_f16_e32 v175, v175, v179
	v_add_f16_e32 v176, v176, v177
	;; [unrolled: 1-line block ×3, first 2 shown]
	v_fmamk_f16 v179, v77, 0xbbad, v191
	v_mul_f16_e32 v181, 0x3beb, v188
	v_mul_f16_e32 v189, 0x3beb, v172
	v_add_f16_e32 v173, v173, v178
	v_mul_f16_e32 v188, 0x3853, v188
	v_add_f16_e32 v179, v179, v182
	v_fma_f16 v182, v79, 0xb08e, -v181
	v_fmamk_f16 v178, v77, 0xb08e, v189
	v_fmac_f16_e32 v181, 0xb08e, v79
	v_fmac_f16_e32 v190, 0xb93d, v79
	v_mul_f16_e32 v172, 0x3853, v172
	v_add_f16_e32 v182, v182, v185
	v_add_f16_e32 v178, v178, v186
	v_fma_f16 v185, v77, 0xb08e, -v189
	v_fma_f16 v186, v79, 0x3abb, -v188
	v_add_f16_e32 v181, v181, v183
	v_sub_f16_e32 v183, v73, v74
	v_add_f16_e32 v91, v190, v91
	v_add_f16_e32 v184, v185, v184
	;; [unrolled: 1-line block ×4, first 2 shown]
	v_mul_f16_e32 v189, 0xbbeb, v183
	v_sub_f16_e32 v75, v75, v76
	v_fma_f16 v190, v77, 0xbbad, -v191
	v_fmamk_f16 v186, v77, 0x3abb, v172
	v_fma_f16 v76, v77, 0x3abb, -v172
	v_add_f16_e32 v73, v73, v74
	v_fma_f16 v74, v187, 0xb08e, -v189
	v_mul_f16_e32 v77, 0xbbeb, v75
	v_mul_f16_e32 v172, 0x3482, v75
	v_add_f16_e32 v51, v76, v51
	v_fmac_f16_e32 v188, 0x3abb, v79
	v_add_f16_e32 v74, v74, v171
	v_fmamk_f16 v76, v73, 0xb08e, v77
	v_mul_f16_e32 v171, 0x3482, v183
	v_fma_f16 v77, v73, 0xb08e, -v77
	v_add_f16_e32 v79, v186, v174
	v_mul_f16_e32 v174, 0x3b47, v183
	v_add_f16_e32 v76, v76, v87
	v_fma_f16 v87, v187, 0xbbad, -v171
	v_add_f16_e32 v77, v77, v78
	v_fmamk_f16 v78, v73, 0xbbad, v172
	v_fmac_f16_e32 v171, 0xbbad, v187
	v_add_f16_e32 v180, v190, v180
	v_add_f16_e32 v87, v87, v170
	v_fma_f16 v170, v73, 0xbbad, -v172
	v_add_f16_e32 v78, v78, v175
	v_fma_f16 v172, v187, 0x36a6, -v174
	v_mul_f16_e32 v175, 0x3b47, v75
	v_add_f16_e32 v91, v171, v91
	v_mul_f16_e32 v171, 0xb853, v183
	v_add_f16_e32 v170, v170, v176
	v_add_f16_e32 v172, v172, v177
	v_fmamk_f16 v176, v73, 0x36a6, v175
	v_fmac_f16_e32 v174, 0x36a6, v187
	v_fma_f16 v175, v73, 0x36a6, -v175
	v_fma_f16 v177, v187, 0x3abb, -v171
	v_mul_f16_e32 v186, 0xb853, v75
	v_mul_f16_e32 v75, 0xba0c, v75
	v_add_f16_e32 v173, v174, v173
	v_add_f16_e32 v174, v175, v180
	;; [unrolled: 1-line block ×3, first 2 shown]
	v_fmac_f16_e32 v171, 0x3abb, v187
	v_fmamk_f16 v182, v73, 0xb93d, v75
	v_add_f16_e32 v176, v176, v179
	v_fmamk_f16 v177, v73, 0x3abb, v186
	v_mul_f16_e32 v179, 0xba0c, v183
	v_add_f16_e32 v171, v171, v181
	v_sub_f16_e32 v181, v68, v69
	v_add_f16_e32 v79, v182, v79
	v_add_f16_e32 v182, v70, v71
	v_sub_f16_e32 v70, v70, v71
	v_add_f16_e32 v169, v188, v169
	v_fma_f16 v180, v73, 0x3abb, -v186
	v_add_f16_e32 v177, v177, v178
	v_fma_f16 v178, v187, 0xb93d, -v179
	v_mul_f16_e32 v71, 0xba0c, v181
	v_fmac_f16_e32 v179, 0xb93d, v187
	v_fma_f16 v73, v73, 0xb93d, -v75
	v_add_f16_e32 v68, v68, v69
	v_mul_f16_e32 v69, 0xba0c, v70
	v_fmac_f16_e32 v189, 0xb08e, v187
	v_fma_f16 v75, v182, 0xb93d, -v71
	v_add_f16_e32 v169, v179, v169
	v_add_f16_e32 v51, v73, v51
	v_mul_f16_e32 v73, 0x3beb, v181
	v_fmamk_f16 v179, v68, 0xb93d, v69
	v_add_f16_e32 v80, v189, v80
	v_add_f16_e32 v74, v75, v74
	v_fmac_f16_e32 v71, 0xb93d, v182
	v_fma_f16 v69, v68, 0xb93d, -v69
	v_fma_f16 v75, v182, 0xb08e, -v73
	v_add_f16_e32 v76, v179, v76
	v_mul_f16_e32 v179, 0x3beb, v70
	v_add_f16_e32 v71, v71, v80
	v_add_f16_e32 v69, v69, v77
	;; [unrolled: 1-line block ×3, first 2 shown]
	v_mul_f16_e32 v77, 0xb853, v181
	v_fmamk_f16 v80, v68, 0xb08e, v179
	v_fma_f16 v87, v68, 0xb08e, -v179
	v_mul_f16_e32 v179, 0xb853, v70
	v_fmac_f16_e32 v73, 0xb08e, v182
	v_fma_f16 v183, v182, 0x3abb, -v77
	v_add_f16_e32 v78, v80, v78
	v_add_f16_e32 v80, v87, v170
	v_fmamk_f16 v87, v68, 0x3abb, v179
	v_mul_f16_e32 v170, 0xb482, v181
	v_fmac_f16_e32 v77, 0x3abb, v182
	v_add_f16_e32 v73, v73, v91
	v_add_f16_e32 v91, v183, v172
	v_fma_f16 v172, v68, 0x3abb, -v179
	v_add_f16_e32 v87, v87, v176
	v_mul_f16_e32 v176, 0xb482, v70
	v_fma_f16 v179, v182, 0xbbad, -v170
	v_add_f16_e32 v77, v77, v173
	v_mul_f16_e32 v173, 0x3b47, v181
	v_add_f16_e32 v180, v180, v184
	v_add_f16_e32 v178, v178, v185
	;; [unrolled: 1-line block ×3, first 2 shown]
	v_fmamk_f16 v174, v68, 0xbbad, v176
	v_add_f16_e32 v175, v179, v175
	v_fmac_f16_e32 v170, 0xbbad, v182
	v_fma_f16 v176, v68, 0xbbad, -v176
	v_fma_f16 v179, v182, 0x36a6, -v173
	v_add_f16_e32 v174, v174, v177
	v_mul_f16_e32 v70, 0x3b47, v70
	v_add_f16_e32 v170, v170, v171
	v_add_f16_e32 v171, v176, v180
	;; [unrolled: 1-line block ×3, first 2 shown]
	v_sub_f16_e32 v177, v62, v63
	v_sub_f16_e32 v179, v52, v64
	v_fmamk_f16 v178, v68, 0x36a6, v70
	v_fmac_f16_e32 v173, 0x36a6, v182
	v_add_f16_e32 v52, v52, v64
	v_mul_f16_e32 v64, 0xb482, v177
	v_fma_f16 v68, v68, 0x36a6, -v70
	v_add_f16_e32 v62, v62, v63
	v_mul_f16_e32 v63, 0xb482, v179
	v_add_f16_e32 v70, v178, v79
	v_fma_f16 v79, v52, 0xbbad, -v64
	v_add_f16_e32 v169, v173, v169
	v_add_f16_e32 v51, v68, v51
	v_fmamk_f16 v68, v62, 0xbbad, v63
	v_mul_f16_e32 v173, 0x3853, v177
	v_fma_f16 v63, v62, 0xbbad, -v63
	v_add_f16_e32 v74, v79, v74
	v_fmac_f16_e32 v64, 0xbbad, v52
	v_add_f16_e32 v68, v68, v76
	v_fma_f16 v76, v52, 0x3abb, -v173
	v_mul_f16_e32 v79, 0x3853, v179
	v_add_f16_e32 v63, v63, v69
	v_mul_f16_e32 v69, 0xba0c, v177
	v_add_f16_e32 v64, v64, v71
	v_add_f16_e32 v71, v76, v75
	v_fmamk_f16 v75, v62, 0x3abb, v79
	v_fma_f16 v76, v62, 0x3abb, -v79
	v_fma_f16 v79, v52, 0xb93d, -v69
	v_mul_f16_e32 v178, 0xba0c, v179
	v_fmac_f16_e32 v173, 0x3abb, v52
	v_add_f16_e32 v75, v75, v78
	v_add_f16_e32 v76, v76, v80
	;; [unrolled: 1-line block ×3, first 2 shown]
	v_fmamk_f16 v79, v62, 0xb93d, v178
	v_mul_f16_e32 v80, 0x3b47, v177
	v_fmac_f16_e32 v69, 0xb93d, v52
	v_fma_f16 v91, v62, 0xb93d, -v178
	v_add_f16_e32 v73, v173, v73
	v_add_f16_e32 v79, v79, v87
	v_fma_f16 v87, v52, 0x36a6, -v80
	v_mul_f16_e32 v173, 0x3b47, v179
	v_add_f16_e32 v69, v69, v77
	v_add_f16_e32 v77, v91, v172
	v_fmac_f16_e32 v80, 0x36a6, v52
	v_add_f16_e32 v87, v87, v175
	v_mul_f16_e32 v172, 0xbbeb, v177
	v_mul_f16_e32 v175, 0xbbeb, v179
	v_add_f16_e32 v72, v72, v206
	v_fmamk_f16 v91, v62, 0x36a6, v173
	v_add_f16_e32 v80, v80, v170
	v_fma_f16 v170, v62, 0x36a6, -v173
	v_fma_f16 v173, v52, 0xb08e, -v172
	v_fmac_f16_e32 v172, 0xb08e, v52
	v_fma_f16 v52, v62, 0xb08e, -v175
	v_add_f16_e32 v91, v91, v174
	v_fmamk_f16 v174, v62, 0xb08e, v175
	v_pack_b32_f16 v84, v84, v86
	v_pack_b32_f16 v86, v149, v150
	v_add_f16_e32 v51, v52, v51
	v_pack_b32_f16 v52, v53, v72
	v_pack_b32_f16 v53, v85, v88
	;; [unrolled: 1-line block ×4, first 2 shown]
	ds_write2_b32 v107, v52, v53 offset1:51
	ds_write2_b32 v107, v72, v85 offset0:102 offset1:153
	v_pack_b32_f16 v52, v143, v144
	v_pack_b32_f16 v53, v146, v147
	;; [unrolled: 1-line block ×8, first 2 shown]
	v_lshlrev_b32_e32 v142, 2, v60
	ds_write2_b32 v107, v52, v53 offset0:204 offset1:255
	ds_write2_b32 v99, v72, v85 offset0:50 offset1:101
	;; [unrolled: 1-line block ×5, first 2 shown]
	v_pack_b32_f16 v52, v158, v159
	v_pack_b32_f16 v53, v161, v163
	v_add_f16_e32 v62, v170, v171
	v_add_f16_e32 v170, v173, v176
	;; [unrolled: 1-line block ×3, first 2 shown]
	v_pack_b32_f16 v72, v165, v166
	v_pack_b32_f16 v84, v167, v168
	v_add_f16_e32 v169, v172, v169
	v_pack_b32_f16 v85, v162, v164
	v_pack_b32_f16 v86, v156, v160
	;; [unrolled: 1-line block ×6, first 2 shown]
	v_add_nc_u32_e32 v74, 0x1000, v142
	ds_write2_b32 v89, v52, v53 offset0:202 offset1:253
	ds_write2_b32 v101, v72, v84 offset0:48 offset1:99
	;; [unrolled: 1-line block ×5, first 2 shown]
	v_pack_b32_f16 v52, v71, v75
	v_pack_b32_f16 v53, v78, v79
	;; [unrolled: 1-line block ×4, first 2 shown]
	v_add_nc_u32_e32 v68, 0x1400, v142
	v_pack_b32_f16 v51, v169, v51
	v_pack_b32_f16 v62, v80, v62
	;; [unrolled: 1-line block ×4, first 2 shown]
	v_add_nc_u32_e32 v71, 0x1600, v142
	v_pack_b32_f16 v63, v64, v63
	ds_write2_b32 v74, v52, v53 offset0:200 offset1:251
	ds_write2_b32 v68, v54, v60 offset0:46 offset1:97
	;; [unrolled: 1-line block ×4, first 2 shown]
	ds_write_b32 v142, v63 offset:6528
	v_lshlrev_b32_e32 v51, 3, v124
	v_lshlrev_b32_e32 v53, 3, v129
	s_waitcnt lgkmcnt(0)
	s_barrier
	buffer_gl0_inv
	v_add_co_u32 v51, s0, s2, v51
	v_add_co_ci_u32_e64 v52, null, s3, 0, s0
	v_lshlrev_b32_e32 v70, 3, v55
	v_add_co_u32 v51, s0, 0x800, v51
	v_add_co_ci_u32_e64 v52, s0, 0, v52, s0
	v_add_co_u32 v53, s0, s2, v53
	v_add_co_ci_u32_e64 v54, null, s3, 0, s0
	v_add_co_u32 v53, s0, 0x800, v53
	v_add_co_ci_u32_e64 v54, s0, 0, v54, s0
	v_add_co_u32 v58, s0, s2, v58
	v_add_co_ci_u32_e64 v60, null, s3, 0, s0
	v_add_co_u32 v57, s0, s2, v57
	v_add_co_ci_u32_e64 v64, null, s3, 0, s0
	v_add_co_u32 v62, s0, 0x800, v58
	v_add_co_ci_u32_e64 v63, s0, 0, v60, s0
	v_add_co_u32 v68, s0, 0x800, v57
	global_load_dwordx2 v[57:58], v[51:52], off offset:128
	v_add_co_ci_u32_e64 v69, s0, 0, v64, s0
	v_lshlrev_b32_e32 v64, 3, v59
	s_clause 0x2
	global_load_dwordx2 v[59:60], v[53:54], off offset:128
	global_load_dwordx2 v[53:54], v[62:63], off offset:128
	;; [unrolled: 1-line block ×3, first 2 shown]
	v_add_co_u32 v62, s0, s2, v64
	v_add_co_ci_u32_e64 v63, null, s3, 0, s0
	v_lshlrev_b32_e32 v64, 3, v61
	v_add_co_u32 v61, s0, 0x800, v62
	v_add_co_ci_u32_e64 v62, s0, 0, v63, s0
	v_add_co_u32 v63, s0, s2, v64
	v_add_co_ci_u32_e64 v64, null, s3, 0, s0
	v_add_co_u32 v56, s0, s2, v56
	v_add_co_ci_u32_e64 v69, null, s3, 0, s0
	v_add_co_u32 v63, s0, 0x800, v63
	v_add_co_ci_u32_e64 v64, s0, 0, v64, s0
	v_add_co_u32 v68, s0, 0x800, v56
	v_add_co_ci_u32_e64 v69, s0, 0, v69, s0
	s_clause 0x2
	global_load_dwordx2 v[61:62], v[61:62], off offset:128
	global_load_dwordx2 v[63:64], v[63:64], off offset:128
	;; [unrolled: 1-line block ×3, first 2 shown]
	v_add_co_u32 v68, s0, s2, v70
	v_add_co_ci_u32_e64 v69, null, s3, 0, s0
	v_add_co_u32 v66, s0, s2, v66
	v_add_co_ci_u32_e64 v70, null, s3, 0, s0
	v_add_co_u32 v68, s0, 0x800, v68
	v_add_co_ci_u32_e64 v69, s0, 0, v69, s0
	v_add_co_u32 v73, s0, 0x800, v66
	v_add_co_ci_u32_e64 v74, s0, 0, v70, s0
	v_lshlrev_b32_e32 v70, 3, v65
	s_clause 0x1
	global_load_dwordx2 v[71:72], v[68:69], off offset:128
	global_load_dwordx2 v[65:66], v[73:74], off offset:128
	v_add_co_u32 v68, s0, s2, v70
	v_add_co_ci_u32_e64 v69, null, s3, 0, s0
	v_lshlrev_b32_e32 v70, 3, v67
	v_add_co_u32 v67, s0, 0x800, v68
	v_add_co_ci_u32_e64 v68, s0, 0, v69, s0
	v_add_co_u32 v73, s0, s2, v70
	v_add_co_ci_u32_e64 v74, null, s3, 0, s0
	global_load_dwordx2 v[69:70], v[67:68], off offset:128
	v_add_co_u32 v67, s0, 0x800, v73
	v_add_co_ci_u32_e64 v68, s0, 0, v74, s0
	s_add_u32 s2, s6, 0x1a4c
	s_addc_u32 s3, s7, 0
	global_load_dwordx2 v[67:68], v[67:68], off offset:128
	ds_read2_b32 v[90:91], v107 offset1:51
	ds_read2_b32 v[73:74], v103 offset0:126 offset1:177
	ds_read2_b32 v[81:82], v100 offset0:98 offset1:149
	;; [unrolled: 1-line block ×12, first 2 shown]
	ds_read_b32 v170, v107 offset:6528
	ds_read2_b32 v[75:76], v107 offset0:204 offset1:255
	ds_read2_b32 v[79:80], v99 offset0:50 offset1:101
	;; [unrolled: 1-line block ×3, first 2 shown]
	s_waitcnt lgkmcnt(16)
	v_lshrrev_b32_e32 v98, 16, v90
	s_waitcnt lgkmcnt(15)
	v_lshrrev_b32_e32 v88, 16, v74
	;; [unrolled: 2-line block ×4, first 2 shown]
	v_lshrrev_b32_e32 v160, 16, v82
	v_lshrrev_b32_e32 v162, 16, v85
	s_waitcnt lgkmcnt(11)
	v_lshrrev_b32_e32 v163, 16, v86
	s_waitcnt lgkmcnt(10)
	v_lshrrev_b32_e32 v165, 16, v94
	v_lshrrev_b32_e32 v166, 16, v87
	v_lshrrev_b32_e32 v168, 16, v95
	s_waitcnt lgkmcnt(9)
	v_lshrrev_b32_e32 v169, 16, v96
	s_waitcnt lgkmcnt(8)
	v_lshrrev_b32_e32 v171, 16, v105
	;; [unrolled: 6-line block ×4, first 2 shown]
	v_lshrrev_b32_e32 v180, 16, v154
	v_lshrrev_b32_e32 v182, 16, v156
	s_waitcnt lgkmcnt(3)
	v_lshrrev_b32_e32 v184, 16, v170
	v_lshrrev_b32_e32 v159, 16, v91
	;; [unrolled: 1-line block ×4, first 2 shown]
	s_waitcnt lgkmcnt(2)
	v_lshrrev_b32_e32 v167, 16, v75
	v_lshrrev_b32_e32 v143, 16, v76
	s_waitcnt lgkmcnt(1)
	v_lshrrev_b32_e32 v148, 16, v79
	v_lshrrev_b32_e32 v147, 16, v80
	;; [unrolled: 3-line block ×3, first 2 shown]
	v_lshrrev_b32_e32 v144, 16, v73
	s_waitcnt vmcnt(10)
	v_mul_f16_sdwa v181, v88, v57 dst_sel:DWORD dst_unused:UNUSED_PAD src0_sel:DWORD src1_sel:WORD_1
	v_mul_f16_sdwa v183, v74, v57 dst_sel:DWORD dst_unused:UNUSED_PAD src0_sel:DWORD src1_sel:WORD_1
	;; [unrolled: 1-line block ×3, first 2 shown]
	v_fma_f16 v74, v74, v57, -v181
	v_mul_f16_sdwa v181, v81, v58 dst_sel:DWORD dst_unused:UNUSED_PAD src0_sel:DWORD src1_sel:WORD_1
	v_fmac_f16_e32 v183, v88, v57
	s_waitcnt vmcnt(9)
	v_mul_f16_sdwa v88, v158, v59 dst_sel:DWORD dst_unused:UNUSED_PAD src0_sel:DWORD src1_sel:WORD_1
	v_fma_f16 v81, v81, v58, -v185
	v_mul_f16_sdwa v185, v84, v59 dst_sel:DWORD dst_unused:UNUSED_PAD src0_sel:DWORD src1_sel:WORD_1
	v_fmac_f16_e32 v181, v157, v58
	v_mul_f16_sdwa v157, v160, v60 dst_sel:DWORD dst_unused:UNUSED_PAD src0_sel:DWORD src1_sel:WORD_1
	v_fma_f16 v84, v84, v59, -v88
	v_mul_f16_sdwa v88, v82, v60 dst_sel:DWORD dst_unused:UNUSED_PAD src0_sel:DWORD src1_sel:WORD_1
	v_fmac_f16_e32 v185, v158, v59
	s_waitcnt vmcnt(8)
	v_mul_f16_sdwa v158, v162, v53 dst_sel:DWORD dst_unused:UNUSED_PAD src0_sel:DWORD src1_sel:WORD_1
	v_fma_f16 v82, v82, v60, -v157
	v_mul_f16_sdwa v157, v85, v53 dst_sel:DWORD dst_unused:UNUSED_PAD src0_sel:DWORD src1_sel:WORD_1
	v_fmac_f16_e32 v88, v160, v60
	v_mul_f16_sdwa v160, v163, v54 dst_sel:DWORD dst_unused:UNUSED_PAD src0_sel:DWORD src1_sel:WORD_1
	;; [unrolled: 9-line block ×7, first 2 shown]
	v_fma_f16 v151, v151, v71, -v173
	v_mul_f16_sdwa v173, v150, v72 dst_sel:DWORD dst_unused:UNUSED_PAD src0_sel:DWORD src1_sel:WORD_1
	v_fmac_f16_e32 v172, v175, v71
	s_waitcnt vmcnt(2)
	v_mul_f16_sdwa v175, v177, v65 dst_sel:DWORD dst_unused:UNUSED_PAD src0_sel:DWORD src1_sel:WORD_1
	v_fma_f16 v174, v150, v72, -v174
	v_mul_f16_sdwa v186, v152, v65 dst_sel:DWORD dst_unused:UNUSED_PAD src0_sel:DWORD src1_sel:WORD_1
	v_mul_f16_sdwa v150, v178, v66 dst_sel:DWORD dst_unused:UNUSED_PAD src0_sel:DWORD src1_sel:WORD_1
	v_fmac_f16_e32 v173, v176, v72
	v_fma_f16 v175, v152, v65, -v175
	v_mul_f16_sdwa v176, v153, v66 dst_sel:DWORD dst_unused:UNUSED_PAD src0_sel:DWORD src1_sel:WORD_1
	v_fmac_f16_e32 v186, v177, v65
	s_waitcnt vmcnt(1)
	v_mul_f16_sdwa v152, v179, v69 dst_sel:DWORD dst_unused:UNUSED_PAD src0_sel:DWORD src1_sel:WORD_1
	v_fma_f16 v153, v153, v66, -v150
	v_mul_f16_sdwa v177, v155, v69 dst_sel:DWORD dst_unused:UNUSED_PAD src0_sel:DWORD src1_sel:WORD_1
	v_mul_f16_sdwa v150, v180, v70 dst_sel:DWORD dst_unused:UNUSED_PAD src0_sel:DWORD src1_sel:WORD_1
	v_fmac_f16_e32 v176, v178, v66
	;; [unrolled: 9-line block ×3, first 2 shown]
	v_fma_f16 v180, v156, v67, -v152
	v_mul_f16_sdwa v188, v170, v68 dst_sel:DWORD dst_unused:UNUSED_PAD src0_sel:DWORD src1_sel:WORD_1
	v_add_f16_e32 v152, v74, v81
	v_fma_f16 v170, v170, v68, -v150
	v_add_f16_e32 v150, v90, v74
	v_add_f16_e32 v154, v183, v181
	v_fmac_f16_e32 v187, v182, v67
	v_fmac_f16_e32 v188, v184, v68
	v_fma_f16 v182, -0.5, v152, v90
	v_sub_f16_e32 v90, v183, v181
	v_add_f16_e32 v184, v150, v81
	v_add_f16_e32 v150, v98, v183
	v_fmac_f16_e32 v98, -0.5, v154
	v_sub_f16_e32 v74, v74, v81
	v_add_f16_e32 v81, v84, v82
	v_fmamk_f16 v183, v90, 0x3aee, v182
	v_fmac_f16_e32 v182, 0xbaee, v90
	v_add_f16_e32 v90, v91, v84
	v_fmamk_f16 v189, v74, 0xbaee, v98
	v_fmac_f16_e32 v98, 0x3aee, v74
	v_add_f16_e32 v74, v185, v88
	v_fmac_f16_e32 v91, -0.5, v81
	v_sub_f16_e32 v81, v185, v88
	v_add_f16_e32 v190, v90, v82
	v_add_f16_e32 v90, v159, v185
	v_fmac_f16_e32 v159, -0.5, v74
	v_sub_f16_e32 v74, v84, v82
	v_fmamk_f16 v185, v81, 0x3aee, v91
	v_fmac_f16_e32 v91, 0xbaee, v81
	v_add_f16_e32 v81, v85, v86
	v_add_f16_e32 v82, v92, v85
	v_fmamk_f16 v192, v74, 0xbaee, v159
	v_fmac_f16_e32 v159, 0x3aee, v74
	v_add_f16_e32 v74, v157, v158
	v_fma_f16 v92, -0.5, v81, v92
	v_sub_f16_e32 v81, v157, v158
	v_add_f16_e32 v193, v82, v86
	v_add_f16_e32 v82, v161, v157
	v_fmac_f16_e32 v161, -0.5, v74
	v_sub_f16_e32 v74, v85, v86
	v_fmamk_f16 v194, v81, 0x3aee, v92
	v_fmac_f16_e32 v92, 0xbaee, v81
	v_add_f16_e32 v81, v94, v87
	v_add_f16_e32 v195, v82, v158
	v_fmamk_f16 v196, v74, 0xbaee, v161
	v_add_f16_e32 v82, v93, v94
	v_fmac_f16_e32 v161, 0x3aee, v74
	v_add_f16_e32 v74, v160, v162
	v_fmac_f16_e32 v93, -0.5, v81
	v_sub_f16_e32 v81, v160, v162
	v_add_f16_e32 v197, v82, v87
	v_add_f16_e32 v82, v164, v160
	v_fmac_f16_e32 v164, -0.5, v74
	v_sub_f16_e32 v74, v94, v87
	v_fmamk_f16 v94, v81, 0x3aee, v93
	v_fmac_f16_e32 v93, 0xbaee, v81
	v_add_f16_e32 v81, v95, v96
	v_add_f16_e32 v160, v82, v162
	v_fmamk_f16 v162, v74, 0xbaee, v164
	v_add_f16_e32 v82, v75, v95
	v_fmac_f16_e32 v164, 0x3aee, v74
	v_add_f16_e32 v74, v163, v165
	v_fma_f16 v198, -0.5, v81, v75
	v_sub_f16_e32 v75, v163, v165
	v_add_f16_e32 v81, v167, v163
	v_add_f16_e32 v199, v82, v96
	v_fmac_f16_e32 v167, -0.5, v74
	v_sub_f16_e32 v74, v95, v96
	v_fmamk_f16 v95, v75, 0x3aee, v198
	v_fmac_f16_e32 v198, 0xbaee, v75
	v_add_f16_e32 v75, v105, v97
	v_add_f16_e32 v96, v81, v165
	v_fmamk_f16 v163, v74, 0xbaee, v167
	v_add_f16_e32 v81, v76, v105
	v_fmac_f16_e32 v167, 0x3aee, v74
	v_add_f16_e32 v74, v166, v168
	v_fmac_f16_e32 v76, -0.5, v75
	v_sub_f16_e32 v75, v166, v168
	v_add_f16_e32 v165, v81, v97
	v_add_f16_e32 v81, v143, v166
	v_fmac_f16_e32 v143, -0.5, v74
	v_sub_f16_e32 v74, v105, v97
	v_fmamk_f16 v97, v75, 0x3aee, v76
	v_fmac_f16_e32 v76, 0xbaee, v75
	v_add_f16_e32 v75, v106, v149
	v_add_f16_e32 v105, v81, v168
	v_fmamk_f16 v166, v74, 0xbaee, v143
	v_add_f16_e32 v81, v79, v106
	v_fmac_f16_e32 v143, 0x3aee, v74
	v_add_f16_e32 v74, v169, v171
	v_fma_f16 v75, -0.5, v75, v79
	v_sub_f16_e32 v79, v169, v171
	v_add_f16_e32 v84, v81, v149
	v_add_f16_e32 v81, v148, v169
	v_fmac_f16_e32 v148, -0.5, v74
	v_sub_f16_e32 v82, v106, v149
	v_fmamk_f16 v74, v79, 0x3aee, v75
	v_fmac_f16_e32 v75, 0xbaee, v79
	v_add_f16_e32 v79, v151, v174
	v_add_f16_e32 v181, v150, v181
	;; [unrolled: 1-line block ×3, first 2 shown]
	v_fmamk_f16 v150, v82, 0xbaee, v148
	v_add_f16_e32 v81, v80, v151
	v_fmac_f16_e32 v148, 0x3aee, v82
	v_add_f16_e32 v82, v172, v173
	v_fmac_f16_e32 v80, -0.5, v79
	v_sub_f16_e32 v79, v172, v173
	v_add_f16_e32 v85, v81, v174
	v_add_f16_e32 v81, v147, v172
	v_fmac_f16_e32 v147, -0.5, v82
	v_sub_f16_e32 v82, v151, v174
	v_fmamk_f16 v86, v79, 0x3aee, v80
	v_fmac_f16_e32 v80, 0xbaee, v79
	v_add_f16_e32 v79, v175, v153
	v_add_f16_e32 v191, v90, v88
	;; [unrolled: 1-line block ×4, first 2 shown]
	v_fmamk_f16 v152, v82, 0xbaee, v147
	v_add_f16_e32 v81, v77, v175
	v_fmac_f16_e32 v147, 0x3aee, v82
	v_fma_f16 v82, -0.5, v79, v77
	v_sub_f16_e32 v79, v186, v176
	v_add_f16_e32 v87, v186, v176
	v_add_f16_e32 v88, v146, v186
	v_add_f16_e32 v106, v145, v177
	v_fmac_f16_e32 v145, -0.5, v90
	v_sub_f16_e32 v90, v155, v179
	v_add_f16_e32 v77, v81, v153
	v_fmamk_f16 v81, v79, 0x3aee, v82
	v_fmac_f16_e32 v82, 0xbaee, v79
	v_add_f16_e32 v79, v155, v179
	v_fmac_f16_e32 v146, -0.5, v87
	v_sub_f16_e32 v87, v175, v153
	v_add_f16_e32 v153, v88, v176
	v_add_f16_e32 v88, v78, v155
	;; [unrolled: 1-line block ×3, first 2 shown]
	v_fmamk_f16 v156, v90, 0xbaee, v145
	v_fmac_f16_e32 v145, 0x3aee, v90
	v_add_f16_e32 v90, v187, v188
	v_add_f16_e32 v106, v73, v180
	v_fmac_f16_e32 v78, -0.5, v79
	v_sub_f16_e32 v79, v177, v178
	v_add_f16_e32 v158, v144, v187
	v_fmac_f16_e32 v144, -0.5, v90
	v_add_f16_e32 v90, v106, v170
	v_pack_b32_f16 v106, v184, v181
	v_pack_b32_f16 v169, v190, v191
	;; [unrolled: 1-line block ×4, first 2 shown]
	v_fmamk_f16 v154, v87, 0xbaee, v146
	v_fmac_f16_e32 v146, 0x3aee, v87
	v_add_f16_e32 v87, v88, v179
	v_fmamk_f16 v88, v79, 0x3aee, v78
	v_fmac_f16_e32 v78, 0xbaee, v79
	v_add_f16_e32 v79, v180, v170
	v_sub_f16_e32 v168, v180, v170
	v_pack_b32_f16 v170, v185, v192
	v_pack_b32_f16 v159, v194, v196
	;; [unrolled: 1-line block ×4, first 2 shown]
	ds_write2_b32 v107, v106, v169 offset1:51
	ds_write2_b32 v100, v98, v91 offset0:98 offset1:149
	ds_write2_b32 v89, v170, v159 offset0:100 offset1:151
	v_pack_b32_f16 v91, v92, v161
	v_pack_b32_f16 v93, v93, v164
	;; [unrolled: 1-line block ×4, first 2 shown]
	v_fmac_f16_e32 v73, -0.5, v79
	v_sub_f16_e32 v157, v187, v188
	v_pack_b32_f16 v94, v199, v96
	v_pack_b32_f16 v96, v165, v105
	;; [unrolled: 1-line block ×4, first 2 shown]
	ds_write2_b32 v107, v171, v160 offset0:102 offset1:153
	ds_write2_b32 v100, v91, v93 offset0:200 offset1:251
	;; [unrolled: 1-line block ×4, first 2 shown]
	v_pack_b32_f16 v91, v97, v166
	v_pack_b32_f16 v93, v74, v150
	v_add_f16_e32 v158, v158, v188
	v_pack_b32_f16 v92, v84, v149
	v_pack_b32_f16 v95, v85, v151
	v_fmamk_f16 v79, v157, 0x3aee, v73
	v_fmac_f16_e32 v73, 0xbaee, v157
	v_fmamk_f16 v157, v168, 0xbaee, v144
	ds_write2_b32 v83, v98, v105 offset0:46 offset1:97
	v_pack_b32_f16 v94, v75, v148
	v_pack_b32_f16 v96, v80, v147
	;; [unrolled: 1-line block ×4, first 2 shown]
	v_fmac_f16_e32 v144, 0x3aee, v168
	ds_write2_b32 v101, v91, v93 offset0:48 offset1:99
	ds_write2_b32 v99, v92, v95 offset0:50 offset1:101
	ds_write2_b32 v83, v94, v96 offset0:148 offset1:199
	v_pack_b32_f16 v91, v77, v153
	v_pack_b32_f16 v92, v82, v146
	;; [unrolled: 1-line block ×6, first 2 shown]
	ds_write2_b32 v101, v97, v98 offset0:150 offset1:201
	v_pack_b32_f16 v94, v88, v156
	v_pack_b32_f16 v97, v79, v157
	ds_write2_b32 v99, v91, v93 offset0:152 offset1:203
	v_pack_b32_f16 v91, v73, v144
	ds_write2_b32 v104, v92, v95 offset0:122 offset1:173
	ds_write2_b32 v103, v96, v168 offset0:126 offset1:177
	;; [unrolled: 1-line block ×3, first 2 shown]
	v_lshlrev_b32_e32 v92, 2, v124
	ds_write_b32 v107, v91 offset:6528
	s_waitcnt lgkmcnt(0)
	s_barrier
	buffer_gl0_inv
	s_clause 0x5
	global_load_dword v159, v92, s[2:3]
	global_load_dword v160, v92, s[2:3] offset:396
	global_load_dword v163, v92, s[2:3] offset:792
	;; [unrolled: 1-line block ×5, first 2 shown]
	v_add_co_u32 v95, s0, s2, v92
	v_add_co_ci_u32_e64 v96, null, s3, 0, s0
	v_add_co_u32 v93, s0, 0x800, v95
	v_add_co_ci_u32_e64 v94, s0, 0, v96, s0
	s_clause 0x3
	global_load_dword v168, v[93:94], off offset:328
	global_load_dword v169, v[93:94], off offset:724
	;; [unrolled: 1-line block ×4, first 2 shown]
	v_add_co_u32 v91, s0, 0x1000, v95
	v_add_co_ci_u32_e64 v92, s0, 0, v96, s0
	s_clause 0x4
	global_load_dword v172, v[93:94], off offset:1912
	global_load_dword v173, v[91:92], off offset:260
	;; [unrolled: 1-line block ×5, first 2 shown]
	v_add_co_u32 v97, s0, 0x1800, v95
	v_add_co_ci_u32_e64 v98, s0, 0, v96, s0
	s_clause 0x1
	global_load_dword v177, v[91:92], off offset:1844
	global_load_dword v178, v[97:98], off offset:192
	ds_read2_b32 v[105:106], v107 offset1:99
	s_waitcnt lgkmcnt(0)
	v_lshrrev_b32_e32 v161, 16, v105
	v_lshrrev_b32_e32 v162, 16, v106
	s_waitcnt vmcnt(16)
	v_mul_f16_sdwa v164, v161, v159 dst_sel:DWORD dst_unused:UNUSED_PAD src0_sel:DWORD src1_sel:WORD_1
	v_mul_f16_sdwa v179, v105, v159 dst_sel:DWORD dst_unused:UNUSED_PAD src0_sel:DWORD src1_sel:WORD_1
	s_waitcnt vmcnt(15)
	v_mul_f16_sdwa v180, v162, v160 dst_sel:DWORD dst_unused:UNUSED_PAD src0_sel:DWORD src1_sel:WORD_1
	v_mul_f16_sdwa v181, v106, v160 dst_sel:DWORD dst_unused:UNUSED_PAD src0_sel:DWORD src1_sel:WORD_1
	v_fma_f16 v105, v105, v159, -v164
	v_fmac_f16_e32 v179, v161, v159
	v_fma_f16 v106, v106, v160, -v180
	v_fmac_f16_e32 v181, v162, v160
	v_pack_b32_f16 v159, v105, v179
	v_add_nc_u32_e32 v105, 0x200, v107
	v_pack_b32_f16 v106, v106, v181
	ds_write2_b32 v107, v159, v106 offset1:99
	ds_read2_b32 v[159:160], v105 offset0:70 offset1:169
	ds_read2_b32 v[161:162], v99 offset0:140 offset1:239
	s_waitcnt lgkmcnt(1)
	v_lshrrev_b32_e32 v106, 16, v159
	s_waitcnt vmcnt(14)
	v_mul_f16_sdwa v179, v159, v163 dst_sel:DWORD dst_unused:UNUSED_PAD src0_sel:DWORD src1_sel:WORD_1
	v_lshrrev_b32_e32 v180, 16, v160
	s_waitcnt vmcnt(13)
	v_mul_f16_sdwa v181, v160, v165 dst_sel:DWORD dst_unused:UNUSED_PAD src0_sel:DWORD src1_sel:WORD_1
	s_waitcnt lgkmcnt(0)
	v_lshrrev_b32_e32 v182, 16, v161
	v_mul_f16_sdwa v164, v106, v163 dst_sel:DWORD dst_unused:UNUSED_PAD src0_sel:DWORD src1_sel:WORD_1
	v_fmac_f16_e32 v179, v106, v163
	v_mul_f16_sdwa v106, v180, v165 dst_sel:DWORD dst_unused:UNUSED_PAD src0_sel:DWORD src1_sel:WORD_1
	v_lshrrev_b32_e32 v183, 16, v162
	v_fmac_f16_e32 v181, v180, v165
	v_fma_f16 v159, v159, v163, -v164
	ds_read2_b32 v[163:164], v89 offset0:82 offset1:181
	v_fma_f16 v106, v160, v165, -v106
	s_waitcnt vmcnt(12)
	v_mul_f16_sdwa v165, v182, v166 dst_sel:DWORD dst_unused:UNUSED_PAD src0_sel:DWORD src1_sel:WORD_1
	v_mul_f16_sdwa v180, v161, v166 dst_sel:DWORD dst_unused:UNUSED_PAD src0_sel:DWORD src1_sel:WORD_1
	v_pack_b32_f16 v179, v159, v179
	ds_read2_b32 v[159:160], v101 offset0:24 offset1:123
	s_waitcnt vmcnt(11)
	v_mul_f16_sdwa v184, v183, v167 dst_sel:DWORD dst_unused:UNUSED_PAD src0_sel:DWORD src1_sel:WORD_1
	v_mul_f16_sdwa v185, v162, v167 dst_sel:DWORD dst_unused:UNUSED_PAD src0_sel:DWORD src1_sel:WORD_1
	v_pack_b32_f16 v106, v106, v181
	v_fma_f16 v161, v161, v166, -v165
	v_fmac_f16_e32 v180, v182, v166
	v_fma_f16 v162, v162, v167, -v184
	v_fmac_f16_e32 v185, v183, v167
	ds_write2_b32 v105, v179, v106 offset0:70 offset1:169
	v_pack_b32_f16 v166, v161, v180
	v_pack_b32_f16 v167, v162, v185
	ds_read2_b32 v[161:162], v102 offset0:94 offset1:193
	s_waitcnt lgkmcnt(3)
	v_lshrrev_b32_e32 v165, 16, v163
	v_lshrrev_b32_e32 v106, 16, v164
	s_waitcnt vmcnt(10)
	v_mul_f16_sdwa v180, v163, v168 dst_sel:DWORD dst_unused:UNUSED_PAD src0_sel:DWORD src1_sel:WORD_1
	s_waitcnt vmcnt(9)
	v_mul_f16_sdwa v182, v164, v169 dst_sel:DWORD dst_unused:UNUSED_PAD src0_sel:DWORD src1_sel:WORD_1
	v_mul_f16_sdwa v179, v165, v168 dst_sel:DWORD dst_unused:UNUSED_PAD src0_sel:DWORD src1_sel:WORD_1
	;; [unrolled: 1-line block ×3, first 2 shown]
	s_waitcnt lgkmcnt(2)
	v_lshrrev_b32_e32 v183, 16, v159
	v_fmac_f16_e32 v180, v165, v168
	v_fmac_f16_e32 v182, v106, v169
	v_fma_f16 v163, v163, v168, -v179
	v_fma_f16 v164, v164, v169, -v181
	v_add_nc_u32_e32 v106, 0x1200, v107
	s_waitcnt vmcnt(8)
	v_mul_f16_sdwa v165, v183, v170 dst_sel:DWORD dst_unused:UNUSED_PAD src0_sel:DWORD src1_sel:WORD_1
	v_mul_f16_sdwa v168, v159, v170 dst_sel:DWORD dst_unused:UNUSED_PAD src0_sel:DWORD src1_sel:WORD_1
	v_pack_b32_f16 v169, v163, v180
	v_pack_b32_f16 v179, v164, v182
	ds_read2_b32 v[163:164], v106 offset0:36 offset1:135
	v_fma_f16 v159, v159, v170, -v165
	v_fmac_f16_e32 v168, v183, v170
	v_lshrrev_b32_e32 v170, 16, v160
	ds_write2_b32 v99, v166, v167 offset0:140 offset1:239
	ds_write2_b32 v89, v169, v179 offset0:82 offset1:181
	s_waitcnt lgkmcnt(3)
	v_lshrrev_b32_e32 v167, 16, v161
	ds_read2_b32 v[165:166], v83 offset0:106 offset1:205
	v_pack_b32_f16 v159, v159, v168
	s_waitcnt vmcnt(7)
	v_mul_f16_sdwa v168, v170, v171 dst_sel:DWORD dst_unused:UNUSED_PAD src0_sel:DWORD src1_sel:WORD_1
	v_mul_f16_sdwa v169, v160, v171 dst_sel:DWORD dst_unused:UNUSED_PAD src0_sel:DWORD src1_sel:WORD_1
	s_waitcnt vmcnt(6)
	v_mul_f16_sdwa v180, v167, v172 dst_sel:DWORD dst_unused:UNUSED_PAD src0_sel:DWORD src1_sel:WORD_1
	v_lshrrev_b32_e32 v179, 16, v162
	v_fma_f16 v160, v160, v171, -v168
	v_mul_f16_sdwa v168, v161, v172 dst_sel:DWORD dst_unused:UNUSED_PAD src0_sel:DWORD src1_sel:WORD_1
	v_fma_f16 v161, v161, v172, -v180
	ds_read_b32 v180, v107 offset:6336
	v_fmac_f16_e32 v169, v170, v171
	s_waitcnt vmcnt(5)
	v_mul_f16_sdwa v170, v179, v173 dst_sel:DWORD dst_unused:UNUSED_PAD src0_sel:DWORD src1_sel:WORD_1
	v_mul_f16_sdwa v171, v162, v173 dst_sel:DWORD dst_unused:UNUSED_PAD src0_sel:DWORD src1_sel:WORD_1
	v_fmac_f16_e32 v168, v167, v172
	s_waitcnt lgkmcnt(4)
	v_lshrrev_b32_e32 v167, 16, v163
	v_pack_b32_f16 v160, v160, v169
	v_fma_f16 v162, v162, v173, -v170
	v_fmac_f16_e32 v171, v179, v173
	v_pack_b32_f16 v161, v161, v168
	v_lshrrev_b32_e32 v168, 16, v164
	s_waitcnt vmcnt(4)
	v_mul_f16_sdwa v169, v167, v174 dst_sel:DWORD dst_unused:UNUSED_PAD src0_sel:DWORD src1_sel:WORD_1
	v_mul_f16_sdwa v170, v163, v174 dst_sel:DWORD dst_unused:UNUSED_PAD src0_sel:DWORD src1_sel:WORD_1
	v_pack_b32_f16 v162, v162, v171
	s_waitcnt lgkmcnt(1)
	v_lshrrev_b32_e32 v171, 16, v165
	s_waitcnt vmcnt(3)
	v_mul_f16_sdwa v172, v168, v175 dst_sel:DWORD dst_unused:UNUSED_PAD src0_sel:DWORD src1_sel:WORD_1
	v_fma_f16 v163, v163, v174, -v169
	v_mul_f16_sdwa v169, v164, v175 dst_sel:DWORD dst_unused:UNUSED_PAD src0_sel:DWORD src1_sel:WORD_1
	v_fmac_f16_e32 v170, v167, v174
	s_waitcnt vmcnt(2)
	v_mul_f16_sdwa v167, v171, v176 dst_sel:DWORD dst_unused:UNUSED_PAD src0_sel:DWORD src1_sel:WORD_1
	v_fma_f16 v164, v164, v175, -v172
	v_lshrrev_b32_e32 v172, 16, v166
	v_fmac_f16_e32 v169, v168, v175
	s_waitcnt lgkmcnt(0)
	v_lshrrev_b32_e32 v168, 16, v180
	v_fma_f16 v167, v165, v176, -v167
	v_mul_f16_sdwa v165, v165, v176 dst_sel:DWORD dst_unused:UNUSED_PAD src0_sel:DWORD src1_sel:WORD_1
	s_waitcnt vmcnt(1)
	v_mul_f16_sdwa v173, v172, v177 dst_sel:DWORD dst_unused:UNUSED_PAD src0_sel:DWORD src1_sel:WORD_1
	v_mul_f16_sdwa v174, v166, v177 dst_sel:DWORD dst_unused:UNUSED_PAD src0_sel:DWORD src1_sel:WORD_1
	s_waitcnt vmcnt(0)
	v_mul_f16_sdwa v175, v168, v178 dst_sel:DWORD dst_unused:UNUSED_PAD src0_sel:DWORD src1_sel:WORD_1
	v_mul_f16_sdwa v179, v180, v178 dst_sel:DWORD dst_unused:UNUSED_PAD src0_sel:DWORD src1_sel:WORD_1
	v_fmac_f16_e32 v165, v171, v176
	v_fma_f16 v166, v166, v177, -v173
	v_fmac_f16_e32 v174, v172, v177
	v_fma_f16 v171, v180, v178, -v175
	v_fmac_f16_e32 v179, v168, v178
	v_pack_b32_f16 v163, v163, v170
	v_pack_b32_f16 v164, v164, v169
	;; [unrolled: 1-line block ×5, first 2 shown]
	ds_write2_b32 v101, v159, v160 offset0:24 offset1:123
	ds_write2_b32 v102, v161, v162 offset0:94 offset1:193
	;; [unrolled: 1-line block ×4, first 2 shown]
	ds_write_b32 v107, v167 offset:6336
	s_and_saveexec_b32 s0, vcc_lo
	s_cbranch_execz .LBB0_9
; %bb.8:
	s_clause 0xc
	global_load_dword v159, v[95:96], off offset:204
	global_load_dword v160, v[95:96], off offset:600
	;; [unrolled: 1-line block ×13, first 2 shown]
	v_lshl_or_b32 v93, v124, 2, 0x1800
	s_clause 0x3
	global_load_dword v176, v[91:92], off offset:1256
	global_load_dword v177, v[91:92], off offset:1652
	global_load_dword v178, v93, s[2:3]
	global_load_dword v179, v[97:98], off offset:396
	ds_read2_b32 v[91:92], v107 offset0:51 offset1:150
	s_waitcnt lgkmcnt(0)
	v_lshrrev_b32_e32 v93, 16, v91
	v_lshrrev_b32_e32 v94, 16, v92
	s_waitcnt vmcnt(16)
	v_mul_f16_sdwa v95, v93, v159 dst_sel:DWORD dst_unused:UNUSED_PAD src0_sel:DWORD src1_sel:WORD_1
	v_mul_f16_sdwa v96, v91, v159 dst_sel:DWORD dst_unused:UNUSED_PAD src0_sel:DWORD src1_sel:WORD_1
	s_waitcnt vmcnt(15)
	v_mul_f16_sdwa v97, v94, v160 dst_sel:DWORD dst_unused:UNUSED_PAD src0_sel:DWORD src1_sel:WORD_1
	v_mul_f16_sdwa v98, v92, v160 dst_sel:DWORD dst_unused:UNUSED_PAD src0_sel:DWORD src1_sel:WORD_1
	v_fma_f16 v91, v91, v159, -v95
	v_fmac_f16_e32 v96, v93, v159
	v_fma_f16 v92, v92, v160, -v97
	v_fmac_f16_e32 v98, v94, v160
	v_pack_b32_f16 v91, v91, v96
	v_pack_b32_f16 v92, v92, v98
	ds_write2_b32 v107, v91, v92 offset0:51 offset1:150
	ds_read2_b32 v[91:92], v105 offset0:121 offset1:220
	ds_read2_b32 v[93:94], v103 offset0:63 offset1:162
	;; [unrolled: 1-line block ×7, first 2 shown]
	ds_read_b32 v180, v107 offset:6540
	s_waitcnt lgkmcnt(7)
	v_lshrrev_b32_e32 v181, 16, v91
	s_waitcnt vmcnt(14)
	v_mul_f16_sdwa v182, v91, v165 dst_sel:DWORD dst_unused:UNUSED_PAD src0_sel:DWORD src1_sel:WORD_1
	v_lshrrev_b32_e32 v183, 16, v92
	s_waitcnt vmcnt(13)
	v_mul_f16_sdwa v184, v92, v166 dst_sel:DWORD dst_unused:UNUSED_PAD src0_sel:DWORD src1_sel:WORD_1
	s_waitcnt lgkmcnt(6)
	v_lshrrev_b32_e32 v185, 16, v93
	s_waitcnt vmcnt(12)
	v_mul_f16_sdwa v186, v93, v167 dst_sel:DWORD dst_unused:UNUSED_PAD src0_sel:DWORD src1_sel:WORD_1
	v_lshrrev_b32_e32 v187, 16, v94
	s_waitcnt vmcnt(11)
	v_mul_f16_sdwa v188, v94, v168 dst_sel:DWORD dst_unused:UNUSED_PAD src0_sel:DWORD src1_sel:WORD_1
	;; [unrolled: 7-line block ×7, first 2 shown]
	s_waitcnt lgkmcnt(0)
	v_lshrrev_b32_e32 v209, 16, v180
	v_mul_f16_sdwa v211, v181, v165 dst_sel:DWORD dst_unused:UNUSED_PAD src0_sel:DWORD src1_sel:WORD_1
	v_fmac_f16_e32 v182, v181, v165
	v_mul_f16_sdwa v181, v183, v166 dst_sel:DWORD dst_unused:UNUSED_PAD src0_sel:DWORD src1_sel:WORD_1
	v_fmac_f16_e32 v184, v183, v166
	;; [unrolled: 2-line block ×9, first 2 shown]
	v_mul_f16_sdwa v197, v199, v174 dst_sel:DWORD dst_unused:UNUSED_PAD src0_sel:DWORD src1_sel:WORD_1
	s_waitcnt vmcnt(0)
	v_mul_f16_sdwa v210, v180, v179 dst_sel:DWORD dst_unused:UNUSED_PAD src0_sel:DWORD src1_sel:WORD_1
	v_fmac_f16_e32 v200, v199, v174
	v_mul_f16_sdwa v199, v201, v175 dst_sel:DWORD dst_unused:UNUSED_PAD src0_sel:DWORD src1_sel:WORD_1
	v_fmac_f16_e32 v202, v201, v175
	;; [unrolled: 2-line block ×5, first 2 shown]
	v_mul_f16_sdwa v207, v209, v179 dst_sel:DWORD dst_unused:UNUSED_PAD src0_sel:DWORD src1_sel:WORD_1
	v_fma_f16 v91, v91, v165, -v211
	v_fma_f16 v92, v92, v166, -v181
	;; [unrolled: 1-line block ×10, first 2 shown]
	v_fmac_f16_e32 v210, v209, v179
	v_fma_f16 v161, v161, v175, -v199
	v_fma_f16 v162, v162, v176, -v201
	;; [unrolled: 1-line block ×5, first 2 shown]
	v_pack_b32_f16 v91, v91, v182
	v_pack_b32_f16 v92, v92, v184
	;; [unrolled: 1-line block ×15, first 2 shown]
	ds_write2_b32 v105, v91, v92 offset0:121 offset1:220
	ds_write2_b32 v103, v93, v94 offset0:63 offset1:162
	;; [unrolled: 1-line block ×7, first 2 shown]
	ds_write_b32 v107, v165 offset:6540
.LBB0_9:
	s_or_b32 exec_lo, exec_lo, s0
	s_waitcnt lgkmcnt(0)
	s_barrier
	buffer_gl0_inv
	ds_read2_b32 v[91:92], v107 offset1:99
	ds_read2_b32 v[103:104], v105 offset0:70 offset1:169
	ds_read2_b32 v[99:100], v99 offset0:140 offset1:239
	;; [unrolled: 1-line block ×7, first 2 shown]
	ds_read_b32 v164, v107 offset:6336
	s_and_saveexec_b32 s0, vcc_lo
	s_cbranch_execz .LBB0_11
; %bb.10:
	v_add_nc_u32_e32 v73, 0x200, v107
	v_add_nc_u32_e32 v76, 0x600, v107
	;; [unrolled: 1-line block ×5, first 2 shown]
	ds_read2_b32 v[74:75], v73 offset0:121 offset1:220
	v_add_nc_u32_e32 v73, 0xc00, v107
	ds_read2_b32 v[83:84], v107 offset0:51 offset1:150
	ds_read2_b32 v[85:86], v76 offset0:63 offset1:162
	;; [unrolled: 1-line block ×4, first 2 shown]
	v_add_nc_u32_e32 v73, 0x1600, v107
	ds_read2_b32 v[87:88], v78 offset0:17 offset1:116
	ds_read2_b32 v[89:90], v79 offset0:87 offset1:186
	;; [unrolled: 1-line block ×3, first 2 shown]
	ds_read_b32 v127, v107 offset:6540
	s_waitcnt lgkmcnt(8)
	v_lshrrev_b32_e32 v150, 16, v74
	v_lshrrev_b32_e32 v148, 16, v75
	s_waitcnt lgkmcnt(7)
	v_lshrrev_b32_e32 v143, 16, v83
	v_lshrrev_b32_e32 v149, 16, v84
	;; [unrolled: 3-line block ×8, first 2 shown]
	s_waitcnt lgkmcnt(0)
	v_lshrrev_b32_e32 v128, 16, v127
	v_mov_b32_e32 v78, v89
	v_mov_b32_e32 v73, v80
	;; [unrolled: 1-line block ×4, first 2 shown]
.LBB0_11:
	s_or_b32 exec_lo, exec_lo, s0
	s_waitcnt lgkmcnt(8)
	v_pk_add_f16 v83, v91, v92
	s_waitcnt lgkmcnt(0)
	v_pk_add_f16 v159, v164, v92
	v_pk_add_f16 v92, v92, v164 neg_lo:[0,1] neg_hi:[0,1]
	v_mov_b32_e32 v175, 0xb964
	v_mov_b32_e32 v163, 0x39e9
	v_pk_add_f16 v83, v83, v103
	v_mov_b32_e32 v167, 0xba62
	v_pk_mul_f16 v89, 0xb5c8, v92 op_sel_hi:[0,1]
	v_mul_f16_sdwa v165, v92, v175 dst_sel:DWORD dst_unused:UNUSED_PAD src0_sel:WORD_1 src1_sel:DWORD
	v_mov_b32_e32 v166, 0xb8d2
	v_pk_add_f16 v83, v83, v104
	v_mul_f16_sdwa v168, v159, v163 dst_sel:DWORD dst_unused:UNUSED_PAD src0_sel:WORD_1 src1_sel:DWORD
	v_mul_f16_sdwa v179, v92, v167 dst_sel:DWORD dst_unused:UNUSED_PAD src0_sel:WORD_1 src1_sel:DWORD
	v_fmamk_f16 v181, v159, 0x39e9, v165
	v_fma_f16 v165, v159, 0x39e9, -v165
	v_pk_add_f16 v83, v83, v99
	v_mul_f16_sdwa v180, v159, v166 dst_sel:DWORD dst_unused:UNUSED_PAD src0_sel:WORD_1 src1_sel:DWORD
	v_fmamk_f16 v182, v92, 0x3964, v168
	v_fmac_f16_e32 v168, 0xb964, v92
	v_add_f16_e32 v191, v91, v165
	v_pk_add_f16 v83, v83, v100
	v_mov_b32_e32 v174, 0xbbf7
	v_mov_b32_e32 v172, 0x2de8
	v_add_f16_sdwa v192, v91, v168 dst_sel:DWORD dst_unused:UNUSED_PAD src0_sel:WORD_1 src1_sel:DWORD
	v_fmamk_f16 v168, v92, 0x3a62, v180
	v_pk_add_f16 v83, v83, v95
	v_fmac_f16_e32 v180, 0xba62, v92
	v_mov_b32_e32 v183, 0xbb29
	v_mov_b32_e32 v160, 0x3722
	v_add_f16_sdwa v195, v91, v168 dst_sel:DWORD dst_unused:UNUSED_PAD src0_sel:WORD_1 src1_sel:DWORD
	v_pk_add_f16 v178, v83, v96
	v_pk_fma_f16 v83, 0x3b76, v159, v89 op_sel:[0,0,1] op_sel_hi:[0,1,0]
	v_pk_fma_f16 v89, 0x3b76, v159, v89 op_sel:[0,0,1] op_sel_hi:[0,1,0] neg_lo:[0,0,1] neg_hi:[0,0,1]
	v_pk_add_f16 v168, v106, v103
	v_add_f16_sdwa v200, v91, v180 dst_sel:DWORD dst_unused:UNUSED_PAD src0_sel:WORD_1 src1_sel:DWORD
	v_pk_add_f16 v178, v178, v93
	v_mul_f16_sdwa v169, v92, v183 dst_sel:DWORD dst_unused:UNUSED_PAD src0_sel:WORD_1 src1_sel:DWORD
	v_bfi_b32 v190, 0xffff, v83, v89
	v_mul_f16_sdwa v201, v168, v172 dst_sel:DWORD dst_unused:UNUSED_PAD src0_sel:WORD_1 src1_sel:DWORD
	v_mul_f16_sdwa v170, v159, v160 dst_sel:DWORD dst_unused:UNUSED_PAD src0_sel:WORD_1 src1_sel:DWORD
	v_pk_add_f16 v178, v178, v94
	v_add_f16_e32 v181, v91, v181
	v_add_f16_sdwa v182, v91, v182 dst_sel:DWORD dst_unused:UNUSED_PAD src0_sel:WORD_1 src1_sel:DWORD
	v_fmamk_f16 v184, v159, 0x3722, v169
	v_fmamk_f16 v185, v92, 0x3b29, v170
	v_pk_add_f16 v178, v178, v97
	v_fma_f16 v169, v159, 0x3722, -v169
	v_mov_b32_e32 v161, 0xbbb2
	v_mul_f16_sdwa v171, v92, v174 dst_sel:DWORD dst_unused:UNUSED_PAD src0_sel:WORD_1 src1_sel:DWORD
	v_mul_f16_sdwa v173, v159, v172 dst_sel:DWORD dst_unused:UNUSED_PAD src0_sel:WORD_1 src1_sel:DWORD
	v_pk_add_f16 v178, v178, v98
	v_fmac_f16_e32 v170, 0xbb29, v92
	v_add_f16_e32 v184, v91, v184
	v_add_f16_sdwa v185, v91, v185 dst_sel:DWORD dst_unused:UNUSED_PAD src0_sel:WORD_1 src1_sel:DWORD
	v_add_f16_e32 v193, v91, v169
	v_pk_add_f16 v178, v178, v101
	v_mov_b32_e32 v162, 0xb461
	v_mul_f16_sdwa v176, v92, v161 dst_sel:DWORD dst_unused:UNUSED_PAD src0_sel:WORD_1 src1_sel:DWORD
	v_fmamk_f16 v186, v159, 0x2de8, v171
	v_fmamk_f16 v187, v92, 0x3bf7, v173
	v_pk_add_f16 v165, v178, v102
	v_pk_add_f16 v178, v91, v190
	v_fma_f16 v171, v159, 0x2de8, -v171
	v_add_f16_sdwa v194, v91, v170 dst_sel:DWORD dst_unused:UNUSED_PAD src0_sel:WORD_1 src1_sel:DWORD
	v_mul_f16_sdwa v177, v159, v162 dst_sel:DWORD dst_unused:UNUSED_PAD src0_sel:WORD_1 src1_sel:DWORD
	v_pk_add_f16 v165, v165, v105
	v_fmac_f16_e32 v173, 0xbbf7, v92
	v_fmamk_f16 v188, v159, 0xb461, v176
	v_add_f16_e32 v186, v91, v186
	v_add_f16_sdwa v187, v91, v187 dst_sel:DWORD dst_unused:UNUSED_PAD src0_sel:WORD_1 src1_sel:DWORD
	v_pk_add_f16 v165, v165, v106
	v_add_f16_e32 v171, v91, v171
	v_mov_b32_e32 v169, 0xbacd
	v_fmamk_f16 v189, v92, 0x3bb2, v177
	v_fma_f16 v176, v159, 0xb461, -v176
	v_pk_add_f16 v164, v165, v164
	v_fmamk_f16 v165, v159, 0xb8d2, v179
	v_add_f16_sdwa v173, v91, v173 dst_sel:DWORD dst_unused:UNUSED_PAD src0_sel:WORD_1 src1_sel:DWORD
	v_add_f16_e32 v188, v91, v188
	v_add_f16_sdwa v189, v91, v189 dst_sel:DWORD dst_unused:UNUSED_PAD src0_sel:WORD_1 src1_sel:DWORD
	v_add_f16_e32 v176, v91, v176
	v_add_f16_e32 v190, v91, v165
	v_pk_add_f16 v165, v103, v106 neg_lo:[0,1] neg_hi:[0,1]
	v_fmac_f16_e32 v177, 0xbbb2, v92
	v_mov_b32_e32 v170, 0xb836
	v_fma_f16 v179, v159, 0xb8d2, -v179
	v_mul_f16_sdwa v197, v159, v169 dst_sel:DWORD dst_unused:UNUSED_PAD src0_sel:WORD_1 src1_sel:DWORD
	v_pk_mul_f16 v106, 0xb964, v165 op_sel_hi:[0,1]
	v_mul_f16_sdwa v180, v165, v174 dst_sel:DWORD dst_unused:UNUSED_PAD src0_sel:WORD_1 src1_sel:DWORD
	v_fmamk_f16 v204, v165, 0x3bf7, v201
	v_fmac_f16_e32 v201, 0xbbf7, v165
	v_add_f16_sdwa v177, v91, v177 dst_sel:DWORD dst_unused:UNUSED_PAD src0_sel:WORD_1 src1_sel:DWORD
	v_pk_fma_f16 v103, 0x39e9, v168, v106 op_sel:[0,0,1] op_sel_hi:[0,1,0]
	v_pk_fma_f16 v106, 0x39e9, v168, v106 op_sel:[0,0,1] op_sel_hi:[0,1,0] neg_lo:[0,0,1] neg_hi:[0,0,1]
	v_fmamk_f16 v203, v168, 0x2de8, v180
	v_add_f16_e32 v182, v204, v182
	v_mul_f16_sdwa v204, v168, v166 dst_sel:DWORD dst_unused:UNUSED_PAD src0_sel:WORD_1 src1_sel:DWORD
	v_add_f16_e32 v192, v201, v192
	v_bfi_b32 v202, 0xffff, v103, v106
	v_add_f16_e32 v181, v203, v181
	v_mul_f16_sdwa v203, v165, v167 dst_sel:DWORD dst_unused:UNUSED_PAD src0_sel:WORD_1 src1_sel:DWORD
	v_fmamk_f16 v201, v165, 0x3a62, v204
	v_fmac_f16_e32 v204, 0xba62, v165
	v_pk_add_f16 v202, v202, v178
	v_fma_f16 v178, v168, 0x2de8, -v180
	v_fmamk_f16 v205, v168, 0xb8d2, v203
	v_mov_b32_e32 v180, 0xbbdd
	v_fma_f16 v203, v168, 0xb8d2, -v203
	v_add_f16_e32 v185, v201, v185
	v_add_f16_e32 v191, v178, v191
	v_mov_b32_e32 v178, 0xb1e1
	v_add_f16_e32 v184, v205, v184
	v_mul_f16_sdwa v201, v168, v180 dst_sel:DWORD dst_unused:UNUSED_PAD src0_sel:WORD_1 src1_sel:DWORD
	v_add_f16_e32 v193, v203, v193
	v_mov_b32_e32 v203, 0x3836
	v_mul_f16_sdwa v205, v165, v178 dst_sel:DWORD dst_unused:UNUSED_PAD src0_sel:WORD_1 src1_sel:DWORD
	v_add_f16_e32 v194, v204, v194
	v_fmamk_f16 v207, v165, 0x31e1, v201
	v_fmac_f16_e32 v201, 0xb1e1, v165
	v_mul_f16_sdwa v196, v92, v170 dst_sel:DWORD dst_unused:UNUSED_PAD src0_sel:WORD_1 src1_sel:DWORD
	v_fmamk_f16 v206, v168, 0xbbdd, v205
	v_fma_f16 v204, v168, 0xbbdd, -v205
	v_mul_f16_sdwa v205, v165, v203 dst_sel:DWORD dst_unused:UNUSED_PAD src0_sel:WORD_1 src1_sel:DWORD
	v_add_f16_e32 v187, v207, v187
	v_mov_b32_e32 v207, 0x3bb2
	v_add_f16_e32 v186, v206, v186
	v_mul_f16_sdwa v206, v168, v169 dst_sel:DWORD dst_unused:UNUSED_PAD src0_sel:WORD_1 src1_sel:DWORD
	v_add_f16_e32 v204, v204, v171
	v_fmamk_f16 v171, v168, 0xbacd, v205
	v_add_f16_e32 v201, v201, v173
	v_fma_f16 v173, v168, 0xbacd, -v205
	v_fmamk_f16 v208, v165, 0xb836, v206
	v_mul_f16_sdwa v205, v168, v162 dst_sel:DWORD dst_unused:UNUSED_PAD src0_sel:WORD_1 src1_sel:DWORD
	v_add_f16_e32 v188, v171, v188
	v_mul_f16_sdwa v171, v165, v207 dst_sel:DWORD dst_unused:UNUSED_PAD src0_sel:WORD_1 src1_sel:DWORD
	v_add_f16_e32 v179, v91, v179
	v_add_f16_e32 v189, v208, v189
	;; [unrolled: 1-line block ×3, first 2 shown]
	v_fmac_f16_e32 v206, 0x3836, v165
	v_fmamk_f16 v173, v168, 0xb461, v171
	v_mov_b32_e32 v176, 0x3b29
	v_fmamk_f16 v209, v165, 0xbbb2, v205
	v_fma_f16 v171, v168, 0xb461, -v171
	v_fmamk_f16 v198, v159, 0xbacd, v196
	v_add_f16_e32 v177, v206, v177
	v_mul_f16_sdwa v206, v165, v176 dst_sel:DWORD dst_unused:UNUSED_PAD src0_sel:WORD_1 src1_sel:DWORD
	v_add_f16_e32 v195, v209, v195
	v_add_f16_e32 v209, v171, v179
	v_pk_add_f16 v171, v104, v105 neg_lo:[0,1] neg_hi:[0,1]
	v_fmamk_f16 v199, v92, 0x3836, v197
	v_add_f16_e32 v198, v91, v198
	v_fma_f16 v196, v159, 0xbacd, -v196
	v_add_f16_e32 v190, v173, v190
	v_fmac_f16_e32 v205, 0x3bb2, v165
	v_fmamk_f16 v179, v168, 0x3722, v206
	v_mul_f16_sdwa v210, v168, v160 dst_sel:DWORD dst_unused:UNUSED_PAD src0_sel:WORD_1 src1_sel:DWORD
	v_pk_add_f16 v173, v105, v104
	v_pk_mul_f16 v105, 0xbb29, v171 op_sel_hi:[0,1]
	v_add_f16_sdwa v199, v91, v199 dst_sel:DWORD dst_unused:UNUSED_PAD src0_sel:WORD_1 src1_sel:DWORD
	v_add_f16_e32 v196, v91, v196
	v_add_f16_e32 v200, v205, v200
	;; [unrolled: 1-line block ×3, first 2 shown]
	v_fmamk_f16 v179, v165, 0xbb29, v210
	v_fma_f16 v205, v168, 0x3722, -v206
	v_pk_fma_f16 v104, 0x3722, v173, v105 op_sel:[0,0,1] op_sel_hi:[0,1,0]
	v_pk_fma_f16 v105, 0x3722, v173, v105 op_sel:[0,0,1] op_sel_hi:[0,1,0] neg_lo:[0,0,1] neg_hi:[0,0,1]
	v_mul_f16_sdwa v206, v171, v167 dst_sel:DWORD dst_unused:UNUSED_PAD src0_sel:WORD_1 src1_sel:DWORD
	v_fmac_f16_e32 v197, 0xb836, v92
	v_add_f16_e32 v199, v179, v199
	v_add_f16_e32 v196, v205, v196
	v_bfi_b32 v179, 0xffff, v104, v105
	v_fmamk_f16 v205, v173, 0xb8d2, v206
	v_mul_f16_sdwa v211, v173, v166 dst_sel:DWORD dst_unused:UNUSED_PAD src0_sel:WORD_1 src1_sel:DWORD
	v_mov_b32_e32 v212, 0x31e1
	v_add_f16_sdwa v197, v91, v197 dst_sel:DWORD dst_unused:UNUSED_PAD src0_sel:WORD_1 src1_sel:DWORD
	v_fmac_f16_e32 v210, 0x3b29, v165
	v_pk_add_f16 v202, v179, v202
	v_add_f16_e32 v205, v205, v181
	v_fmamk_f16 v179, v171, 0x3a62, v211
	v_mul_f16_sdwa v181, v171, v212 dst_sel:DWORD dst_unused:UNUSED_PAD src0_sel:WORD_1 src1_sel:DWORD
	v_add_f16_e32 v197, v210, v197
	v_mul_f16_sdwa v210, v173, v180 dst_sel:DWORD dst_unused:UNUSED_PAD src0_sel:WORD_1 src1_sel:DWORD
	v_fmac_f16_e32 v211, 0xba62, v171
	v_add_f16_e32 v182, v179, v182
	v_fmamk_f16 v179, v173, 0xbbdd, v181
	v_fma_f16 v181, v173, 0xbbdd, -v181
	v_fma_f16 v206, v173, 0xb8d2, -v206
	v_fmamk_f16 v212, v171, 0xb1e1, v210
	v_add_f16_e32 v192, v211, v192
	v_add_f16_e32 v184, v179, v184
	v_mul_f16_sdwa v179, v171, v207 dst_sel:DWORD dst_unused:UNUSED_PAD src0_sel:WORD_1 src1_sel:DWORD
	v_mul_f16_sdwa v211, v173, v162 dst_sel:DWORD dst_unused:UNUSED_PAD src0_sel:WORD_1 src1_sel:DWORD
	v_add_f16_e32 v193, v181, v193
	v_fmac_f16_e32 v210, 0x31e1, v171
	v_mov_b32_e32 v181, 0x3964
	v_add_f16_e32 v191, v206, v191
	v_add_f16_e32 v206, v212, v185
	v_fmamk_f16 v185, v173, 0xb461, v179
	v_fmamk_f16 v212, v171, 0xbbb2, v211
	v_fma_f16 v179, v173, 0xb461, -v179
	v_add_f16_e32 v194, v210, v194
	v_mul_f16_sdwa v210, v171, v181 dst_sel:DWORD dst_unused:UNUSED_PAD src0_sel:WORD_1 src1_sel:DWORD
	v_mul_f16_sdwa v213, v173, v163 dst_sel:DWORD dst_unused:UNUSED_PAD src0_sel:WORD_1 src1_sel:DWORD
	v_add_f16_e32 v187, v212, v187
	v_add_f16_e32 v204, v179, v204
	v_mov_b32_e32 v212, 0xb5c8
	v_fmamk_f16 v179, v173, 0x39e9, v210
	v_add_f16_e32 v186, v185, v186
	v_fmac_f16_e32 v211, 0x3bb2, v171
	v_mov_b32_e32 v185, 0x3b76
	v_fmamk_f16 v214, v171, 0xb964, v213
	v_add_f16_e32 v188, v179, v188
	v_mul_f16_sdwa v179, v171, v212 dst_sel:DWORD dst_unused:UNUSED_PAD src0_sel:WORD_1 src1_sel:DWORD
	v_fma_f16 v210, v173, 0x39e9, -v210
	v_fmac_f16_e32 v213, 0x3964, v171
	v_add_f16_e32 v201, v211, v201
	v_mul_f16_sdwa v211, v173, v185 dst_sel:DWORD dst_unused:UNUSED_PAD src0_sel:WORD_1 src1_sel:DWORD
	v_fmamk_f16 v215, v173, 0x3b76, v179
	v_add_f16_e32 v208, v210, v208
	v_add_f16_e32 v210, v213, v177
	v_pk_add_f16 v177, v99, v102 neg_lo:[0,1] neg_hi:[0,1]
	v_fmamk_f16 v216, v171, 0x35c8, v211
	v_add_f16_e32 v190, v215, v190
	v_mul_f16_sdwa v213, v171, v174 dst_sel:DWORD dst_unused:UNUSED_PAD src0_sel:WORD_1 src1_sel:DWORD
	v_fma_f16 v215, v173, 0x3b76, -v179
	v_pk_add_f16 v179, v102, v99
	v_pk_mul_f16 v102, 0xbbf7, v177 op_sel_hi:[0,1]
	v_add_f16_e32 v189, v214, v189
	v_add_f16_e32 v195, v216, v195
	v_mul_f16_sdwa v214, v173, v172 dst_sel:DWORD dst_unused:UNUSED_PAD src0_sel:WORD_1 src1_sel:DWORD
	v_fmac_f16_e32 v211, 0xb5c8, v171
	v_fmamk_f16 v216, v173, 0x2de8, v213
	v_add_f16_e32 v209, v215, v209
	v_pk_fma_f16 v99, 0x2de8, v179, v102 op_sel:[0,0,1] op_sel_hi:[0,1,0]
	v_pk_fma_f16 v102, 0x2de8, v179, v102 op_sel:[0,0,1] op_sel_hi:[0,1,0] neg_lo:[0,0,1] neg_hi:[0,0,1]
	v_mul_f16_sdwa v215, v179, v180 dst_sel:DWORD dst_unused:UNUSED_PAD src0_sel:WORD_1 src1_sel:DWORD
	v_fmamk_f16 v217, v171, 0x3bf7, v214
	v_add_f16_e32 v200, v211, v200
	v_add_f16_e32 v198, v216, v198
	v_mul_f16_sdwa v211, v177, v178 dst_sel:DWORD dst_unused:UNUSED_PAD src0_sel:WORD_1 src1_sel:DWORD
	v_fma_f16 v213, v173, 0x2de8, -v213
	v_fmac_f16_e32 v214, 0xbbf7, v171
	v_bfi_b32 v216, 0xffff, v99, v102
	v_fmamk_f16 v218, v177, 0x31e1, v215
	v_add_f16_e32 v199, v217, v199
	v_fmamk_f16 v217, v179, 0xbbdd, v211
	v_add_f16_e32 v196, v213, v196
	v_add_f16_e32 v197, v214, v197
	v_pk_add_f16 v202, v216, v202
	v_add_f16_e32 v213, v218, v182
	v_mul_f16_sdwa v182, v177, v207 dst_sel:DWORD dst_unused:UNUSED_PAD src0_sel:WORD_1 src1_sel:DWORD
	v_fma_f16 v211, v179, 0xbbdd, -v211
	v_fmac_f16_e32 v215, 0xb1e1, v177
	v_mov_b32_e32 v214, 0x35c8
	v_mul_f16_sdwa v216, v179, v162 dst_sel:DWORD dst_unused:UNUSED_PAD src0_sel:WORD_1 src1_sel:DWORD
	v_add_f16_e32 v205, v217, v205
	v_fmamk_f16 v217, v179, 0xb461, v182
	v_add_f16_e32 v191, v211, v191
	v_add_f16_e32 v192, v215, v192
	v_mul_f16_sdwa v211, v177, v214 dst_sel:DWORD dst_unused:UNUSED_PAD src0_sel:WORD_1 src1_sel:DWORD
	v_fmamk_f16 v215, v177, 0xbbb2, v216
	v_add_f16_e32 v217, v217, v184
	v_fma_f16 v182, v179, 0xb461, -v182
	v_fmac_f16_e32 v216, 0x3bb2, v177
	v_fmamk_f16 v184, v179, 0x3b76, v211
	v_add_f16_e32 v206, v215, v206
	v_mul_f16_sdwa v215, v179, v185 dst_sel:DWORD dst_unused:UNUSED_PAD src0_sel:WORD_1 src1_sel:DWORD
	v_add_f16_e32 v193, v182, v193
	v_add_f16_e32 v194, v216, v194
	;; [unrolled: 1-line block ×3, first 2 shown]
	v_mul_f16_sdwa v182, v177, v183 dst_sel:DWORD dst_unused:UNUSED_PAD src0_sel:WORD_1 src1_sel:DWORD
	v_fmamk_f16 v184, v177, 0xb5c8, v215
	v_mul_f16_sdwa v216, v179, v160 dst_sel:DWORD dst_unused:UNUSED_PAD src0_sel:WORD_1 src1_sel:DWORD
	v_fma_f16 v211, v179, 0x3b76, -v211
	v_fmac_f16_e32 v215, 0x35c8, v177
	v_fmamk_f16 v218, v179, 0x3722, v182
	v_add_f16_e32 v187, v184, v187
	v_fmamk_f16 v184, v177, 0x3b29, v216
	v_add_f16_e32 v204, v211, v204
	v_mul_f16_sdwa v211, v177, v170 dst_sel:DWORD dst_unused:UNUSED_PAD src0_sel:WORD_1 src1_sel:DWORD
	v_fma_f16 v182, v179, 0x3722, -v182
	v_add_f16_e32 v201, v215, v201
	v_add_f16_e32 v188, v218, v188
	;; [unrolled: 1-line block ×3, first 2 shown]
	v_mul_f16_sdwa v215, v179, v169 dst_sel:DWORD dst_unused:UNUSED_PAD src0_sel:WORD_1 src1_sel:DWORD
	v_fmac_f16_e32 v216, 0xbb29, v177
	v_fmamk_f16 v184, v179, 0xbacd, v211
	v_mov_b32_e32 v218, 0x3a62
	v_add_f16_e32 v208, v182, v208
	v_pk_add_f16 v182, v100, v101 neg_lo:[0,1] neg_hi:[0,1]
	v_fmamk_f16 v219, v177, 0x3836, v215
	v_add_f16_e32 v210, v216, v210
	v_add_f16_e32 v190, v184, v190
	v_mul_f16_sdwa v216, v177, v218 dst_sel:DWORD dst_unused:UNUSED_PAD src0_sel:WORD_1 src1_sel:DWORD
	v_fma_f16 v211, v179, 0xbacd, -v211
	v_fmac_f16_e32 v215, 0xb836, v177
	v_mul_f16_sdwa v220, v179, v166 dst_sel:DWORD dst_unused:UNUSED_PAD src0_sel:WORD_1 src1_sel:DWORD
	v_pk_add_f16 v184, v101, v100
	v_pk_mul_f16 v101, 0xbbb2, v182 op_sel_hi:[0,1]
	v_add_f16_e32 v209, v211, v209
	v_add_f16_e32 v200, v215, v200
	v_fmamk_f16 v211, v177, 0xba62, v220
	v_fma_f16 v215, v179, 0xb8d2, -v216
	v_pk_fma_f16 v100, 0xb461, v184, v101 op_sel:[0,0,1] op_sel_hi:[0,1,0]
	v_pk_fma_f16 v101, 0xb461, v184, v101 op_sel:[0,0,1] op_sel_hi:[0,1,0] neg_lo:[0,0,1] neg_hi:[0,0,1]
	v_mul_f16_sdwa v203, v182, v203 dst_sel:DWORD dst_unused:UNUSED_PAD src0_sel:WORD_1 src1_sel:DWORD
	v_add_f16_e32 v195, v219, v195
	v_fmamk_f16 v219, v179, 0xb8d2, v216
	v_add_f16_e32 v199, v211, v199
	v_fmac_f16_e32 v220, 0x3a62, v177
	v_bfi_b32 v211, 0xffff, v100, v101
	v_add_f16_e32 v196, v215, v196
	v_fmamk_f16 v215, v184, 0xbacd, v203
	v_mul_f16_sdwa v216, v184, v169 dst_sel:DWORD dst_unused:UNUSED_PAD src0_sel:WORD_1 src1_sel:DWORD
	v_add_f16_e32 v197, v220, v197
	v_pk_add_f16 v202, v211, v202
	v_mul_f16_sdwa v211, v182, v181 dst_sel:DWORD dst_unused:UNUSED_PAD src0_sel:WORD_1 src1_sel:DWORD
	v_add_f16_e32 v205, v215, v205
	v_fmamk_f16 v215, v182, 0xb836, v216
	v_mul_f16_sdwa v220, v184, v163 dst_sel:DWORD dst_unused:UNUSED_PAD src0_sel:WORD_1 src1_sel:DWORD
	v_add_f16_e32 v198, v219, v198
	v_fmac_f16_e32 v216, 0x3836, v182
	v_fmamk_f16 v219, v184, 0x39e9, v211
	v_add_f16_e32 v213, v215, v213
	v_fmamk_f16 v215, v182, 0xb964, v220
	v_mul_f16_sdwa v183, v182, v183 dst_sel:DWORD dst_unused:UNUSED_PAD src0_sel:WORD_1 src1_sel:DWORD
	v_fma_f16 v211, v184, 0x39e9, -v211
	v_fma_f16 v203, v184, 0xbacd, -v203
	v_add_f16_e32 v192, v216, v192
	v_mul_f16_sdwa v216, v184, v160 dst_sel:DWORD dst_unused:UNUSED_PAD src0_sel:WORD_1 src1_sel:DWORD
	v_add_f16_e32 v206, v215, v206
	v_fmamk_f16 v215, v184, 0x3722, v183
	v_add_f16_e32 v193, v211, v193
	v_mul_f16_sdwa v211, v182, v178 dst_sel:DWORD dst_unused:UNUSED_PAD src0_sel:WORD_1 src1_sel:DWORD
	v_add_f16_e32 v191, v203, v191
	v_add_f16_e32 v203, v219, v217
	v_fmamk_f16 v217, v182, 0x3b29, v216
	v_add_f16_e32 v186, v215, v186
	v_fmac_f16_e32 v216, 0xbb29, v182
	v_fmamk_f16 v215, v184, 0xbbdd, v211
	v_mul_f16_sdwa v219, v184, v180 dst_sel:DWORD dst_unused:UNUSED_PAD src0_sel:WORD_1 src1_sel:DWORD
	v_add_f16_e32 v187, v217, v187
	v_fma_f16 v183, v184, 0x3722, -v183
	v_mov_b32_e32 v217, 0x3bf7
	v_add_f16_e32 v201, v216, v201
	v_add_f16_e32 v188, v215, v188
	v_fmamk_f16 v215, v182, 0x31e1, v219
	v_mul_f16_sdwa v216, v184, v172 dst_sel:DWORD dst_unused:UNUSED_PAD src0_sel:WORD_1 src1_sel:DWORD
	v_fmac_f16_e32 v220, 0x3964, v182
	v_add_f16_e32 v183, v183, v204
	v_mul_f16_sdwa v204, v182, v217 dst_sel:DWORD dst_unused:UNUSED_PAD src0_sel:WORD_1 src1_sel:DWORD
	v_add_f16_e32 v189, v215, v189
	v_fmamk_f16 v215, v182, 0xbbf7, v216
	v_add_f16_e32 v194, v220, v194
	v_fma_f16 v211, v184, 0xbbdd, -v211
	v_fmamk_f16 v220, v184, 0x2de8, v204
	v_fmac_f16_e32 v219, 0xb1e1, v182
	v_add_f16_e32 v195, v215, v195
	v_pk_add_f16 v215, v95, v98 neg_lo:[0,1] neg_hi:[0,1]
	v_add_f16_e32 v208, v211, v208
	v_add_f16_e32 v190, v220, v190
	v_mul_f16_sdwa v211, v182, v212 dst_sel:DWORD dst_unused:UNUSED_PAD src0_sel:WORD_1 src1_sel:DWORD
	v_fma_f16 v204, v184, 0x2de8, -v204
	v_fmac_f16_e32 v216, 0x3bf7, v182
	v_mul_f16_sdwa v220, v184, v185 dst_sel:DWORD dst_unused:UNUSED_PAD src0_sel:WORD_1 src1_sel:DWORD
	v_pk_add_f16 v95, v98, v95
	v_pk_mul_f16 v98, 0xba62, v215 op_sel_hi:[0,1]
	v_add_f16_e32 v210, v219, v210
	v_fmamk_f16 v219, v184, 0x3b76, v211
	v_add_f16_e32 v204, v204, v209
	v_add_f16_e32 v200, v216, v200
	v_fmamk_f16 v209, v182, 0x35c8, v220
	v_pk_fma_f16 v216, 0xb8d2, v95, v98 op_sel:[0,0,1] op_sel_hi:[0,1,0]
	v_pk_fma_f16 v98, 0xb8d2, v95, v98 op_sel:[0,0,1] op_sel_hi:[0,1,0] neg_lo:[0,0,1] neg_hi:[0,0,1]
	v_mul_f16_sdwa v207, v215, v207 dst_sel:DWORD dst_unused:UNUSED_PAD src0_sel:WORD_1 src1_sel:DWORD
	v_fmac_f16_e32 v220, 0xb5c8, v182
	v_add_f16_e32 v198, v219, v198
	v_fma_f16 v211, v184, 0x3b76, -v211
	v_add_f16_e32 v199, v209, v199
	v_bfi_b32 v209, 0xffff, v216, v98
	v_fmamk_f16 v219, v95, 0xb461, v207
	v_add_f16_e32 v197, v220, v197
	v_fma_f16 v207, v95, 0xb461, -v207
	v_mul_f16_sdwa v220, v95, v185 dst_sel:DWORD dst_unused:UNUSED_PAD src0_sel:WORD_1 src1_sel:DWORD
	v_add_f16_e32 v196, v211, v196
	v_mul_f16_sdwa v211, v95, v162 dst_sel:DWORD dst_unused:UNUSED_PAD src0_sel:WORD_1 src1_sel:DWORD
	v_pk_add_f16 v202, v209, v202
	v_mul_f16_sdwa v209, v215, v212 dst_sel:DWORD dst_unused:UNUSED_PAD src0_sel:WORD_1 src1_sel:DWORD
	v_add_f16_e32 v191, v207, v191
	v_fmamk_f16 v207, v215, 0x35c8, v220
	v_add_f16_e32 v205, v219, v205
	v_fmamk_f16 v219, v215, 0xbbb2, v211
	v_fmac_f16_e32 v211, 0x3bb2, v215
	v_fmamk_f16 v221, v95, 0x3b76, v209
	v_fma_f16 v209, v95, 0x3b76, -v209
	v_add_f16_e32 v206, v207, v206
	v_mul_f16_sdwa v207, v95, v169 dst_sel:DWORD dst_unused:UNUSED_PAD src0_sel:WORD_1 src1_sel:DWORD
	v_add_f16_e32 v192, v211, v192
	v_mul_f16_sdwa v211, v215, v170 dst_sel:DWORD dst_unused:UNUSED_PAD src0_sel:WORD_1 src1_sel:DWORD
	v_add_f16_e32 v193, v209, v193
	v_mul_f16_sdwa v209, v215, v217 dst_sel:DWORD dst_unused:UNUSED_PAD src0_sel:WORD_1 src1_sel:DWORD
	v_fmamk_f16 v217, v215, 0x3836, v207
	v_add_f16_e32 v213, v219, v213
	v_fmamk_f16 v219, v95, 0xbacd, v211
	v_fma_f16 v211, v95, 0xbacd, -v211
	v_fmac_f16_e32 v207, 0xb836, v215
	v_add_f16_e32 v187, v217, v187
	v_mul_f16_sdwa v217, v95, v172 dst_sel:DWORD dst_unused:UNUSED_PAD src0_sel:WORD_1 src1_sel:DWORD
	v_add_f16_e32 v186, v219, v186
	v_add_f16_e32 v183, v211, v183
	;; [unrolled: 1-line block ×3, first 2 shown]
	v_mul_f16_sdwa v211, v95, v163 dst_sel:DWORD dst_unused:UNUSED_PAD src0_sel:WORD_1 src1_sel:DWORD
	v_fmamk_f16 v207, v215, 0xbbf7, v217
	v_fmamk_f16 v219, v95, 0x2de8, v209
	v_mul_f16_sdwa v175, v215, v175 dst_sel:DWORD dst_unused:UNUSED_PAD src0_sel:WORD_1 src1_sel:DWORD
	v_fma_f16 v209, v95, 0x2de8, -v209
	v_fmac_f16_e32 v217, 0x3bf7, v215
	v_add_f16_e32 v189, v207, v189
	v_fmamk_f16 v207, v215, 0x3964, v211
	v_add_f16_e32 v188, v219, v188
	v_fmamk_f16 v219, v95, 0x39e9, v175
	v_add_f16_e32 v208, v209, v208
	v_add_f16_e32 v209, v217, v210
	v_mul_f16_sdwa v210, v215, v178 dst_sel:DWORD dst_unused:UNUSED_PAD src0_sel:WORD_1 src1_sel:DWORD
	v_add_f16_e32 v195, v207, v195
	v_pk_add_f16 v207, v96, v97 neg_lo:[0,1] neg_hi:[0,1]
	v_add_f16_e32 v190, v219, v190
	v_fma_f16 v175, v95, 0x39e9, -v175
	v_fmac_f16_e32 v211, 0xb964, v215
	v_fmamk_f16 v217, v95, 0xbbdd, v210
	v_mul_f16_sdwa v219, v95, v180 dst_sel:DWORD dst_unused:UNUSED_PAD src0_sel:WORD_1 src1_sel:DWORD
	v_pk_add_f16 v96, v97, v96
	v_pk_mul_f16 v97, 0xb836, v207 op_sel_hi:[0,1]
	v_fmac_f16_e32 v220, 0xb5c8, v215
	v_add_f16_e32 v175, v175, v204
	v_add_f16_e32 v200, v211, v200
	;; [unrolled: 1-line block ×3, first 2 shown]
	v_fmamk_f16 v204, v215, 0x31e1, v219
	v_pk_fma_f16 v211, 0xbacd, v96, v97 op_sel:[0,0,1] op_sel_hi:[0,1,0]
	v_pk_fma_f16 v97, 0xbacd, v96, v97 op_sel:[0,0,1] op_sel_hi:[0,1,0] neg_lo:[0,0,1] neg_hi:[0,0,1]
	v_mul_f16_sdwa v217, v207, v176 dst_sel:DWORD dst_unused:UNUSED_PAD src0_sel:WORD_1 src1_sel:DWORD
	v_fma_f16 v210, v95, 0xbbdd, -v210
	v_add_f16_e32 v194, v220, v194
	v_add_f16_e32 v199, v204, v199
	v_bfi_b32 v204, 0xffff, v211, v97
	v_fmamk_f16 v220, v96, 0x3722, v217
	v_add_f16_e32 v196, v210, v196
	v_mul_f16_sdwa v210, v96, v160 dst_sel:DWORD dst_unused:UNUSED_PAD src0_sel:WORD_1 src1_sel:DWORD
	v_mul_f16_sdwa v172, v96, v172 dst_sel:DWORD dst_unused:UNUSED_PAD src0_sel:WORD_1 src1_sel:DWORD
	v_pk_add_f16 v202, v204, v202
	v_add_f16_e32 v204, v220, v205
	v_fmac_f16_e32 v219, 0xb1e1, v215
	v_fmamk_f16 v205, v207, 0xbb29, v210
	v_fmac_f16_e32 v210, 0x3b29, v207
	v_mul_f16_sdwa v174, v207, v174 dst_sel:DWORD dst_unused:UNUSED_PAD src0_sel:WORD_1 src1_sel:DWORD
	v_fma_f16 v217, v96, 0x3722, -v217
	v_add_f16_e32 v197, v219, v197
	v_add_f16_e32 v205, v205, v213
	;; [unrolled: 1-line block ×3, first 2 shown]
	v_fmamk_f16 v210, v207, 0x3bf7, v172
	v_fmac_f16_e32 v172, 0xbbf7, v207
	v_fmamk_f16 v219, v96, 0x2de8, v174
	v_fma_f16 v174, v96, 0x2de8, -v174
	v_mul_f16_sdwa v213, v207, v218 dst_sel:DWORD dst_unused:UNUSED_PAD src0_sel:WORD_1 src1_sel:DWORD
	v_add_f16_e32 v206, v210, v206
	v_mul_f16_sdwa v210, v96, v166 dst_sel:DWORD dst_unused:UNUSED_PAD src0_sel:WORD_1 src1_sel:DWORD
	v_add_f16_e32 v172, v172, v194
	v_add_f16_e32 v174, v174, v193
	v_mul_f16_sdwa v193, v207, v212 dst_sel:DWORD dst_unused:UNUSED_PAD src0_sel:WORD_1 src1_sel:DWORD
	v_add_f16_e32 v191, v217, v191
	v_fmamk_f16 v194, v207, 0xba62, v210
	v_fmac_f16_e32 v210, 0x3a62, v207
	v_fmamk_f16 v217, v96, 0xb8d2, v213
	v_fma_f16 v212, v96, 0xb8d2, -v213
	v_fmamk_f16 v213, v96, 0x3b76, v193
	v_add_f16_e32 v187, v194, v187
	v_mul_f16_sdwa v194, v96, v185 dst_sel:DWORD dst_unused:UNUSED_PAD src0_sel:WORD_1 src1_sel:DWORD
	v_add_f16_e32 v201, v210, v201
	v_mul_f16_sdwa v178, v207, v178 dst_sel:DWORD dst_unused:UNUSED_PAD src0_sel:WORD_1 src1_sel:DWORD
	v_mul_f16_sdwa v180, v96, v180 dst_sel:DWORD dst_unused:UNUSED_PAD src0_sel:WORD_1 src1_sel:DWORD
	v_fma_f16 v193, v96, 0x3b76, -v193
	v_fmamk_f16 v210, v207, 0x35c8, v194
	v_fmac_f16_e32 v194, 0xb5c8, v207
	v_add_f16_e32 v183, v212, v183
	v_fmamk_f16 v212, v96, 0xbbdd, v178
	v_add_f16_e32 v193, v193, v208
	v_add_f16_e32 v189, v210, v189
	v_fmamk_f16 v210, v207, 0x31e1, v180
	v_add_f16_e32 v194, v194, v209
	v_mul_f16_sdwa v208, v207, v181 dst_sel:DWORD dst_unused:UNUSED_PAD src0_sel:WORD_1 src1_sel:DWORD
	v_pk_add_f16 v209, v93, v94 neg_lo:[0,1] neg_hi:[0,1]
	v_add_f16_e32 v190, v212, v190
	v_add_f16_e32 v195, v210, v195
	v_fma_f16 v178, v96, 0xbbdd, -v178
	v_fmac_f16_e32 v180, 0xb1e1, v207
	v_fmamk_f16 v210, v96, 0x39e9, v208
	v_mul_f16_sdwa v212, v96, v163 dst_sel:DWORD dst_unused:UNUSED_PAD src0_sel:WORD_1 src1_sel:DWORD
	v_pk_add_f16 v93, v94, v93
	v_pk_mul_f16 v94, 0xb1e1, v209 op_sel_hi:[0,1]
	v_add_f16_e32 v175, v178, v175
	v_add_f16_e32 v178, v180, v200
	;; [unrolled: 1-line block ×3, first 2 shown]
	v_fmamk_f16 v198, v207, 0xb964, v212
	v_pk_fma_f16 v200, 0xbbdd, v93, v94 op_sel:[0,0,1] op_sel_hi:[0,1,0]
	v_pk_fma_f16 v94, 0xbbdd, v93, v94 op_sel:[0,0,1] op_sel_hi:[0,1,0] neg_lo:[0,0,1] neg_hi:[0,0,1]
	v_mul_f16_sdwa v210, v209, v214 dst_sel:DWORD dst_unused:UNUSED_PAD src0_sel:WORD_1 src1_sel:DWORD
	v_add_f16_e32 v188, v213, v188
	v_add_f16_e32 v198, v198, v199
	v_mul_f16_sdwa v185, v93, v185 dst_sel:DWORD dst_unused:UNUSED_PAD src0_sel:WORD_1 src1_sel:DWORD
	v_bfi_b32 v199, 0xffff, v200, v94
	v_fmamk_f16 v213, v93, 0x3b76, v210
	v_fma_f16 v208, v96, 0x39e9, -v208
	v_mul_f16_sdwa v170, v209, v170 dst_sel:DWORD dst_unused:UNUSED_PAD src0_sel:WORD_1 src1_sel:DWORD
	v_mul_f16_sdwa v169, v93, v169 dst_sel:DWORD dst_unused:UNUSED_PAD src0_sel:WORD_1 src1_sel:DWORD
	v_pk_add_f16 v199, v199, v202
	v_add_f16_e32 v202, v213, v204
	v_fmamk_f16 v204, v209, 0xb5c8, v185
	v_fmac_f16_e32 v185, 0x35c8, v209
	v_mul_f16_sdwa v181, v209, v181 dst_sel:DWORD dst_unused:UNUSED_PAD src0_sel:WORD_1 src1_sel:DWORD
	v_add_f16_e32 v186, v217, v186
	v_add_f16_e32 v196, v208, v196
	v_fma_f16 v208, v93, 0x3b76, -v210
	v_fmamk_f16 v210, v93, 0xbacd, v170
	v_add_f16_e32 v204, v204, v205
	v_add_f16_e32 v185, v185, v192
	v_fmamk_f16 v192, v209, 0x3836, v169
	v_fma_f16 v170, v93, 0xbacd, -v170
	v_fmac_f16_e32 v169, 0xb836, v209
	v_mul_f16_sdwa v163, v93, v163 dst_sel:DWORD dst_unused:UNUSED_PAD src0_sel:WORD_1 src1_sel:DWORD
	v_fmamk_f16 v205, v93, 0x39e9, v181
	v_mul_f16_sdwa v167, v209, v167 dst_sel:DWORD dst_unused:UNUSED_PAD src0_sel:WORD_1 src1_sel:DWORD
	v_add_f16_e32 v203, v221, v203
	v_add_f16_e32 v170, v170, v174
	;; [unrolled: 1-line block ×3, first 2 shown]
	v_fmamk_f16 v172, v209, 0xb964, v163
	v_add_f16_e32 v174, v205, v186
	v_fma_f16 v181, v93, 0x39e9, -v181
	v_fmamk_f16 v186, v93, 0xb8d2, v167
	v_mul_f16_sdwa v166, v93, v166 dst_sel:DWORD dst_unused:UNUSED_PAD src0_sel:WORD_1 src1_sel:DWORD
	v_mul_f16_sdwa v176, v209, v176 dst_sel:DWORD dst_unused:UNUSED_PAD src0_sel:WORD_1 src1_sel:DWORD
	v_add_f16_e32 v203, v219, v203
	v_add_f16_e32 v172, v172, v187
	;; [unrolled: 1-line block ×4, first 2 shown]
	v_fmamk_f16 v186, v209, 0x3a62, v166
	v_mul_f16_sdwa v160, v93, v160 dst_sel:DWORD dst_unused:UNUSED_PAD src0_sel:WORD_1 src1_sel:DWORD
	v_fmamk_f16 v187, v93, 0x3722, v176
	v_fma_f16 v176, v93, 0x3722, -v176
	v_mul_f16_sdwa v161, v209, v161 dst_sel:DWORD dst_unused:UNUSED_PAD src0_sel:WORD_1 src1_sel:DWORD
	v_mul_f16_sdwa v162, v93, v162 dst_sel:DWORD dst_unused:UNUSED_PAD src0_sel:WORD_1 src1_sel:DWORD
	v_add_f16_e32 v203, v210, v203
	v_add_f16_e32 v192, v192, v206
	;; [unrolled: 1-line block ×3, first 2 shown]
	v_fmamk_f16 v188, v209, 0xbb29, v160
	v_fmac_f16_e32 v160, 0x3b29, v209
	v_add_f16_e32 v175, v176, v175
	v_fmamk_f16 v176, v93, 0xb461, v161
	v_fmamk_f16 v189, v209, 0x3bb2, v162
	v_pk_mul_f16 v159, 0xbbdd, v159 op_sel_hi:[0,1]
	v_add_f16_e32 v160, v160, v178
	v_add_f16_e32 v176, v176, v180
	;; [unrolled: 1-line block ×3, first 2 shown]
	v_pack_b32_f16 v180, v203, v192
	v_pack_b32_f16 v189, v202, v204
	s_barrier
	buffer_gl0_inv
	v_pack_b32_f16 v183, v183, v186
	v_pk_fma_f16 v186, 0xb1e1, v92, v159 op_sel:[0,0,1] op_sel_hi:[0,1,0]
	ds_write2_b32 v130, v164, v199 offset1:1
	ds_write2_b32 v130, v189, v180 offset0:2 offset1:3
	v_pk_mul_f16 v164, 0x3b76, v168 op_sel_hi:[0,1]
	v_pack_b32_f16 v172, v174, v172
	v_pk_fma_f16 v92, 0xb1e1, v92, v159 op_sel:[0,0,1] op_sel_hi:[0,1,0] neg_lo:[0,1,0] neg_hi:[0,1,0]
	v_alignbit_b32 v168, s0, v186, 16
	v_pk_mul_f16 v173, 0xbacd, v173 op_sel_hi:[0,1]
	v_pk_fma_f16 v159, 0x35c8, v165, v164 op_sel:[0,0,1] op_sel_hi:[0,1,0]
	v_alignbit_b32 v174, s0, v91, 16
	ds_write2_b32 v130, v172, v183 offset0:4 offset1:5
	v_pack_b32_f16 v172, v176, v178
	v_pk_add_f16 v168, v91, v168
	v_pk_add_f16 v92, v91, v92 op_sel:[1,0] op_sel_hi:[0,1]
	v_alignbit_b32 v176, s0, v159, 16
	v_pk_fma_f16 v164, 0x35c8, v165, v164 op_sel:[0,0,1] op_sel_hi:[0,1,0] neg_lo:[0,1,0] neg_hi:[0,1,0]
	v_pk_fma_f16 v165, 0xb836, v171, v173 op_sel:[0,0,1] op_sel_hi:[0,1,0]
	v_pk_add_f16 v174, v174, v186
	v_pk_mul_f16 v178, 0x39e9, v179 op_sel_hi:[0,1]
	v_pk_add_f16 v168, v176, v168
	v_pk_add_f16 v92, v164, v92
	v_alignbit_b32 v164, s0, v165, 16
	v_pk_fma_f16 v171, 0xb836, v171, v173 op_sel:[0,0,1] op_sel_hi:[0,1,0] neg_lo:[0,1,0] neg_hi:[0,1,0]
	v_pk_fma_f16 v173, 0x3964, v177, v178 op_sel:[0,0,1] op_sel_hi:[0,1,0]
	v_pk_add_f16 v159, v159, v174
	v_pk_mul_f16 v174, 0xb8d2, v184 op_sel_hi:[0,1]
	v_pk_add_f16 v164, v164, v168
	v_bfi_b32 v83, 0xffff, v89, v83
	v_alignbit_b32 v168, s0, v173, 16
	v_pk_add_f16 v92, v171, v92
	v_pk_fma_f16 v176, 0xba62, v182, v174 op_sel:[0,0,1] op_sel_hi:[0,1,0]
	v_pk_fma_f16 v171, 0x3964, v177, v178 op_sel:[0,0,1] op_sel_hi:[0,1,0] neg_lo:[0,1,0] neg_hi:[0,1,0]
	v_pk_add_f16 v159, v165, v159
	v_pk_add_f16 v164, v168, v164
	v_pk_mul_f16 v95, 0x3722, v95 op_sel_hi:[0,1]
	v_alignbit_b32 v165, s0, v176, 16
	v_pk_add_f16 v83, v91, v83
	v_bfi_b32 v91, 0xffff, v106, v103
	v_pk_add_f16 v92, v171, v92
	v_pk_fma_f16 v168, 0xba62, v182, v174 op_sel:[0,0,1] op_sel_hi:[0,1,0] neg_lo:[0,1,0] neg_hi:[0,1,0]
	v_pk_add_f16 v159, v173, v159
	v_pk_add_f16 v89, v165, v164
	v_pk_fma_f16 v164, 0x3b29, v215, v95 op_sel:[0,0,1] op_sel_hi:[0,1,0]
	v_pk_mul_f16 v96, 0xb461, v96 op_sel_hi:[0,1]
	v_pk_add_f16 v83, v91, v83
	v_bfi_b32 v91, 0xffff, v105, v104
	v_pk_add_f16 v92, v168, v92
	v_pk_add_f16 v103, v176, v159
	v_alignbit_b32 v106, s0, v164, 16
	v_pk_fma_f16 v95, 0x3b29, v215, v95 op_sel:[0,0,1] op_sel_hi:[0,1,0] neg_lo:[0,1,0] neg_hi:[0,1,0]
	v_pk_fma_f16 v159, 0xbbb2, v207, v96 op_sel:[0,0,1] op_sel_hi:[0,1,0]
	v_pk_add_f16 v83, v91, v83
	v_bfi_b32 v91, 0xffff, v102, v99
	v_fma_f16 v167, v93, 0xb8d2, -v167
	v_fma_f16 v161, v93, 0xb461, -v161
	v_pk_add_f16 v89, v106, v89
	v_pk_add_f16 v92, v95, v92
	v_alignbit_b32 v95, s0, v159, 16
	v_pk_mul_f16 v93, 0x2de8, v93 op_sel_hi:[0,1]
	v_pk_add_f16 v83, v91, v83
	v_bfi_b32 v91, 0xffff, v101, v100
	v_pk_add_f16 v99, v164, v103
	v_pk_fma_f16 v96, 0xbbb2, v207, v96 op_sel:[0,0,1] op_sel_hi:[0,1,0] neg_lo:[0,1,0] neg_hi:[0,1,0]
	v_pk_add_f16 v89, v95, v89
	v_pk_fma_f16 v95, 0x3bf7, v209, v93 op_sel:[0,0,1] op_sel_hi:[0,1,0]
	v_fmac_f16_e32 v212, 0x3964, v207
	v_pk_add_f16 v83, v91, v83
	v_bfi_b32 v91, 0xffff, v98, v216
	v_pk_add_f16 v92, v96, v92
	v_pk_fma_f16 v93, 0x3bf7, v209, v93 op_sel:[0,0,1] op_sel_hi:[0,1,0] neg_lo:[0,1,0] neg_hi:[0,1,0]
	v_pk_add_f16 v96, v159, v99
	v_alignbit_b32 v99, s0, v95, 16
	v_add_f16_e32 v197, v212, v197
	v_fmac_f16_e32 v162, 0xbbb2, v209
	v_fmac_f16_e32 v163, 0x3964, v209
	;; [unrolled: 1-line block ×3, first 2 shown]
	v_pk_add_f16 v83, v91, v83
	v_bfi_b32 v91, 0xffff, v97, v211
	v_add_f16_e32 v187, v187, v190
	v_add_f16_e32 v188, v188, v195
	v_pk_add_f16 v92, v93, v92
	v_pk_add_f16 v93, v95, v96
	;; [unrolled: 1-line block ×3, first 2 shown]
	v_add_f16_e32 v161, v161, v196
	v_add_f16_e32 v162, v162, v197
	;; [unrolled: 1-line block ×6, first 2 shown]
	v_pk_add_f16 v83, v91, v83
	v_bfi_b32 v91, 0xffff, v94, v200
	v_pack_b32_f16 v177, v187, v188
	v_alignbit_b32 v93, v93, v92, 16
	v_pack_b32_f16 v89, v89, v92
	v_pack_b32_f16 v92, v175, v160
	;; [unrolled: 1-line block ×7, first 2 shown]
	v_pk_add_f16 v83, v91, v83
	ds_write2_b32 v130, v177, v172 offset0:6 offset1:7
	ds_write2_b32 v130, v89, v93 offset0:8 offset1:9
	;; [unrolled: 1-line block ×5, first 2 shown]
	ds_write_b32 v130, v83 offset:64
	s_and_saveexec_b32 s0, vcc_lo
	s_cbranch_execz .LBB0_13
; %bb.12:
	v_add_f16_e32 v83, v84, v76
	v_sub_f16_e32 v95, v85, v90
	v_add_f16_e32 v96, v90, v85
	v_sub_f16_e32 v91, v80, v88
	v_add_f16_e32 v93, v88, v80
	v_add_f16_e32 v89, v74, v83
	v_sub_f16_e32 v83, v77, v87
	v_sub_f16_e32 v99, v149, v128
	v_add_f16_e32 v98, v127, v84
	v_sub_f16_e32 v97, v84, v127
	v_add_f16_e32 v100, v75, v89
	v_add_f16_e32 v89, v87, v77
	v_mul_f16_e32 v103, 0xba62, v99
	v_sub_f16_e32 v92, v86, v78
	v_add_f16_e32 v94, v78, v86
	v_add_f16_e32 v85, v85, v100
	v_sub_f16_e32 v84, v74, v73
	v_add_f16_e32 v100, v128, v149
	v_mul_f16_e32 v101, 0xb836, v99
	v_mul_f16_e32 v102, 0xb1e1, v99
	v_add_f16_e32 v85, v86, v85
	v_mul_f16_e32 v86, 0xbbb2, v99
	v_mul_f16_e32 v104, 0xbbf7, v99
	;; [unrolled: 1-line block ×4, first 2 shown]
	v_add_f16_e32 v80, v80, v85
	v_mul_f16_e32 v85, 0xb5c8, v99
	v_mul_f16_e32 v99, 0xb836, v97
	v_add_f16_e32 v166, v144, v150
	v_fmamk_f16 v160, v98, 0xb461, v86
	v_add_f16_e32 v77, v77, v80
	v_fmamk_f16 v80, v98, 0xb8d2, v103
	v_fma_f16 v164, v98, 0x3b76, -v85
	v_fma_f16 v86, v98, 0xb461, -v86
	v_fmamk_f16 v161, v98, 0x2de8, v104
	v_add_f16_e32 v77, v81, v77
	v_add_f16_e32 v165, v76, v80
	v_fma_f16 v104, v98, 0x2de8, -v104
	v_fmamk_f16 v162, v98, 0x3722, v105
	v_fma_f16 v105, v98, 0x3722, -v105
	v_add_f16_e32 v77, v82, v77
	v_add_f16_e32 v168, v157, v148
	v_fma_f16 v130, v98, 0xbacd, -v101
	v_fma_f16 v159, v98, 0xbbdd, -v102
	v_fmac_f16_e32 v102, 0xbbdd, v98
	v_add_f16_e32 v77, v87, v77
	v_fmamk_f16 v87, v98, 0x3b76, v85
	v_fmamk_f16 v85, v100, 0xbacd, v99
	v_fmac_f16_e32 v101, 0xbacd, v98
	v_fma_f16 v103, v98, 0xb8d2, -v103
	v_add_f16_e32 v77, v88, v77
	v_add_f16_e32 v167, v76, v87
	v_fmamk_f16 v163, v98, 0x39e9, v106
	v_fma_f16 v106, v98, 0x39e9, -v106
	v_add_f16_e32 v98, v76, v86
	v_add_f16_e32 v77, v78, v77
	;; [unrolled: 1-line block ×7, first 2 shown]
	v_mul_f16_e32 v90, 0x3b29, v84
	v_sub_f16_e32 v77, v75, v79
	v_mul_f16_e32 v105, 0x3a62, v95
	v_sub_f16_e32 v170, v150, v144
	v_add_f16_e32 v130, v76, v130
	v_fmamk_f16 v87, v166, 0x3722, v90
	v_mul_f16_e32 v169, 0xbbf7, v77
	v_add_f16_e32 v159, v76, v159
	v_add_f16_e32 v102, v76, v102
	;; [unrolled: 1-line block ×4, first 2 shown]
	v_fmamk_f16 v87, v168, 0x2de8, v169
	v_add_f16_e32 v160, v76, v160
	v_add_f16_e32 v161, v76, v161
	v_add_f16_e32 v162, v76, v162
	v_add_f16_e32 v163, v76, v163
	v_add_f16_e32 v86, v87, v86
	v_fmamk_f16 v87, v104, 0xb8d2, v105
	v_add_f16_e32 v103, v76, v103
	v_add_f16_e32 v78, v76, v106
	;; [unrolled: 1-line block ×5, first 2 shown]
	v_mul_f16_e32 v164, 0xb5c8, v92
	v_add_f16_e32 v75, v79, v75
	v_add_f16_e32 v74, v73, v74
	;; [unrolled: 1-line block ×3, first 2 shown]
	v_mul_f16_e32 v87, 0x3b29, v170
	v_sub_f16_e32 v171, v148, v157
	v_fmamk_f16 v86, v106, 0x3b76, v164
	v_add_f16_e32 v172, v156, v147
	v_mul_f16_e32 v173, 0xb1e1, v91
	v_add_f16_e32 v174, v73, v80
	v_fma_f16 v73, v74, 0x3722, -v87
	v_mul_f16_e32 v175, 0xbbf7, v171
	v_sub_f16_e32 v176, v151, v158
	v_add_f16_e32 v79, v86, v79
	v_fmamk_f16 v80, v172, 0xbbdd, v173
	v_add_f16_e32 v73, v73, v130
	v_fma_f16 v86, v75, 0x2de8, -v175
	v_mul_f16_e32 v130, 0x3964, v83
	v_add_f16_e32 v177, v155, v153
	v_mul_f16_e32 v178, 0x3a62, v176
	v_sub_f16_e32 v179, v152, v145
	v_add_f16_e32 v79, v80, v79
	v_add_f16_e32 v73, v86, v73
	v_fmamk_f16 v80, v177, 0x39e9, v130
	v_fma_f16 v86, v96, 0xb8d2, -v178
	v_mul_f16_e32 v180, 0xb5c8, v179
	v_sub_f16_e32 v181, v147, v156
	v_mul_f16_e32 v183, 0xb1e1, v97
	v_add_f16_e32 v79, v80, v79
	v_add_f16_e32 v73, v86, v73
	v_fma_f16 v80, v94, 0x3b76, -v180
	v_mul_f16_e32 v182, 0xb1e1, v181
	v_mul_f16_e32 v184, 0x35c8, v84
	v_add_f16_e32 v187, v146, v154
	v_sub_f16_e32 v188, v153, v155
	v_add_f16_e32 v73, v80, v73
	v_fma_f16 v80, v93, 0xbbdd, -v182
	v_fma_f16 v99, v100, 0xbacd, -v99
	;; [unrolled: 1-line block ×3, first 2 shown]
	v_mul_f16_e32 v189, 0x3964, v188
	v_fmac_f16_e32 v87, 0x3722, v74
	v_add_f16_e32 v86, v80, v73
	v_fmamk_f16 v73, v100, 0xbbdd, v183
	v_fmamk_f16 v80, v166, 0x3b76, v184
	v_fma_f16 v183, v100, 0xbbdd, -v183
	v_fma_f16 v184, v166, 0x3b76, -v184
	v_add_f16_e32 v99, v143, v99
	v_add_f16_e32 v73, v143, v73
	v_fma_f16 v105, v104, 0xb8d2, -v105
	v_add_f16_e32 v183, v143, v183
	v_add_f16_e32 v101, v87, v101
	;; [unrolled: 1-line block ×4, first 2 shown]
	v_sub_f16_e32 v80, v81, v82
	v_add_f16_e32 v81, v82, v81
	v_add_f16_e32 v183, v184, v183
	v_mul_f16_e32 v184, 0xba62, v179
	v_fmac_f16_e32 v175, 0x2de8, v75
	v_mul_f16_e32 v186, 0xbbb2, v80
	v_fmac_f16_e32 v178, 0xb8d2, v96
	v_fmac_f16_e32 v180, 0x3b76, v94
	v_fmac_f16_e32 v182, 0xbbdd, v93
	v_add_f16_e32 v101, v175, v101
	v_fmamk_f16 v73, v187, 0xb461, v186
	v_mul_f16_e32 v207, 0xbbdd, v166
	v_mul_f16_e32 v223, 0xb8d2, v166
	;; [unrolled: 1-line block ×3, first 2 shown]
	v_add_f16_e32 v101, v178, v101
	v_add_f16_e32 v73, v73, v79
	v_fma_f16 v79, v89, 0x39e9, -v189
	v_fmac_f16_e32 v189, 0x39e9, v89
	v_fmamk_f16 v208, v84, 0x31e1, v207
	v_add_f16_e32 v101, v180, v101
	v_fmamk_f16 v224, v84, 0x3a62, v223
	v_add_f16_e32 v79, v79, v86
	v_mul_f16_e32 v86, 0xb836, v77
	v_fmamk_f16 v240, v84, 0x3bf7, v239
	v_add_f16_e32 v101, v182, v101
	v_add_f16_e32 v149, v149, v143
	v_fmac_f16_e32 v239, 0xbbf7, v84
	v_fmamk_f16 v190, v168, 0xbacd, v86
	v_fma_f16 v86, v168, 0xbacd, -v86
	v_add_f16_e32 v101, v189, v101
	v_add_f16_e32 v149, v150, v149
	v_mul_f16_e32 v150, 0x3722, v168
	v_add_f16_e32 v185, v190, v185
	v_mul_f16_e32 v190, 0x3964, v95
	v_add_f16_e32 v86, v86, v183
	v_mul_f16_e32 v183, 0x3b29, v181
	v_add_f16_e32 v148, v148, v149
	v_fmac_f16_e32 v207, 0xb1e1, v84
	v_fmamk_f16 v82, v104, 0x39e9, v190
	v_fma_f16 v190, v104, 0x39e9, -v190
	v_fmac_f16_e32 v223, 0xba62, v84
	v_add_f16_e32 v148, v151, v148
	v_add_f16_e32 v127, v127, v174
	v_add_f16_e32 v82, v82, v185
	v_mul_f16_e32 v185, 0xba62, v92
	v_add_f16_e32 v86, v190, v86
	v_mul_f16_e32 v190, 0xbbb2, v188
	v_add_f16_e32 v148, v152, v148
	v_fmamk_f16 v191, v106, 0xb8d2, v185
	v_fma_f16 v185, v106, 0xb8d2, -v185
	v_add_f16_e32 v147, v147, v148
	v_mul_f16_e32 v148, 0xb8d2, v172
	v_add_f16_e32 v82, v191, v82
	v_mul_f16_e32 v191, 0x3b29, v91
	v_add_f16_e32 v86, v185, v86
	v_add_f16_e32 v147, v153, v147
	v_fmamk_f16 v192, v172, 0x3722, v191
	v_fma_f16 v185, v172, 0x3722, -v191
	v_add_f16_e32 v147, v154, v147
	v_add_f16_e32 v82, v192, v82
	v_sub_f16_e32 v192, v154, v146
	v_add_f16_e32 v185, v185, v86
	v_add_f16_e32 v146, v146, v147
	v_mul_f16_e32 v154, 0xbb29, v171
	v_mul_f16_e32 v147, 0xbbf7, v176
	v_mul_f16_e32 v193, 0xbbb2, v192
	v_mul_f16_e32 v191, 0x3bf7, v192
	v_add_f16_e32 v146, v155, v146
	v_mul_f16_e32 v155, 0xbacd, v177
	v_mul_f16_e32 v151, 0x35c8, v192
	v_fma_f16 v194, v81, 0xb461, -v193
	v_fma_f16 v86, v81, 0x2de8, -v191
	v_fmac_f16_e32 v191, 0x2de8, v81
	v_fmac_f16_e32 v193, 0xb461, v81
	v_add_f16_e32 v146, v156, v146
	v_add_f16_e32 v79, v194, v79
	v_mul_f16_e32 v194, 0x35c8, v170
	v_mul_f16_e32 v156, 0xbbb2, v179
	v_add_f16_e32 v101, v193, v101
	v_add_f16_e32 v145, v145, v146
	v_mul_f16_e32 v146, 0xba62, v181
	v_fma_f16 v195, v74, 0x3b76, -v194
	v_fmac_f16_e32 v194, 0x3b76, v74
	v_pack_b32_f16 v73, v79, v73
	v_add_f16_e32 v145, v158, v145
	v_mul_f16_e32 v158, 0xb836, v188
	v_add_f16_e32 v159, v195, v159
	v_mul_f16_e32 v195, 0xbbb2, v83
	v_add_f16_e32 v102, v194, v102
	v_add_f16_e32 v145, v157, v145
	v_mul_f16_e32 v157, 0xbbdd, v187
	v_fmamk_f16 v196, v177, 0xb461, v195
	v_fma_f16 v99, v177, 0xb461, -v195
	v_add_f16_e32 v144, v144, v145
	v_mul_f16_e32 v145, 0xb1e1, v192
	v_add_f16_e32 v82, v196, v82
	v_mul_f16_e32 v196, 0xb836, v171
	v_add_f16_e32 v99, v99, v185
	v_add_f16_e32 v128, v128, v144
	v_fma_f16 v197, v75, 0xbacd, -v196
	v_fmac_f16_e32 v196, 0xbacd, v75
	v_add_f16_e32 v159, v197, v159
	v_mul_f16_e32 v197, 0x3964, v176
	v_add_f16_e32 v102, v196, v102
	v_fma_f16 v198, v96, 0x39e9, -v197
	v_fmac_f16_e32 v197, 0x39e9, v96
	v_add_f16_e32 v159, v198, v159
	v_mul_f16_e32 v198, 0x3bf7, v80
	v_add_f16_e32 v102, v197, v102
	v_fmamk_f16 v199, v187, 0x2de8, v198
	v_fma_f16 v87, v187, 0x2de8, -v198
	v_add_f16_e32 v82, v199, v82
	v_fma_f16 v199, v94, 0xb8d2, -v184
	v_fmac_f16_e32 v184, 0xb8d2, v94
	v_add_f16_e32 v87, v87, v99
	v_fma_f16 v99, v106, 0x3b76, -v164
	v_add_f16_e32 v159, v199, v159
	v_fma_f16 v199, v93, 0x3722, -v183
	v_add_f16_e32 v102, v184, v102
	v_fmac_f16_e32 v183, 0x3722, v93
	v_add_f16_e32 v159, v199, v159
	v_fma_f16 v199, v89, 0xb461, -v190
	v_add_f16_e32 v102, v183, v102
	v_fmac_f16_e32 v190, 0xb461, v89
	v_add_f16_e32 v159, v199, v159
	v_add_f16_e32 v86, v86, v159
	v_fma_f16 v159, v168, 0x2de8, -v169
	v_add_f16_e32 v90, v159, v90
	v_add_f16_e32 v90, v105, v90
	v_mul_f16_e32 v105, 0xb8d2, v100
	v_add_f16_e32 v90, v99, v90
	v_add_f16_e32 v99, v190, v102
	v_fma_f16 v102, v172, 0xbbdd, -v173
	v_mul_f16_e32 v190, 0xbacd, v166
	v_add_f16_e32 v102, v102, v90
	v_add_f16_e32 v90, v191, v99
	v_fma_f16 v99, v177, 0x39e9, -v130
	v_mul_f16_e32 v130, 0xb461, v166
	v_fmamk_f16 v191, v84, 0xb836, v190
	v_mul_f16_e32 v166, 0x39e9, v166
	v_fmac_f16_e32 v190, 0x3836, v84
	v_add_f16_e32 v99, v99, v102
	v_fmamk_f16 v102, v97, 0x3a62, v105
	v_fmamk_f16 v159, v84, 0xbbb2, v130
	v_fmac_f16_e32 v105, 0xba62, v97
	v_fmac_f16_e32 v130, 0x3bb2, v84
	v_fmamk_f16 v254, v84, 0x3964, v166
	v_add_f16_e32 v102, v143, v102
	v_fmac_f16_e32 v166, 0xb964, v84
	v_add_f16_e32 v105, v143, v105
	v_add_f16_e32 v102, v159, v102
	v_fma_f16 v159, v187, 0xb461, -v186
	v_add_f16_e32 v105, v130, v105
	v_add_f16_e32 v99, v159, v99
	v_mul_f16_e32 v159, 0x3b76, v168
	v_fmamk_f16 v164, v77, 0x35c8, v159
	v_fmac_f16_e32 v159, 0xb5c8, v77
	v_add_f16_e32 v102, v164, v102
	v_mul_f16_e32 v164, 0xbacd, v104
	v_add_f16_e32 v105, v159, v105
	v_fmamk_f16 v169, v95, 0x3836, v164
	v_fmac_f16_e32 v164, 0xb836, v95
	v_add_f16_e32 v102, v169, v102
	v_mul_f16_e32 v169, 0x2de8, v106
	v_add_f16_e32 v105, v164, v105
	;; [unrolled: 5-line block ×3, first 2 shown]
	v_fmamk_f16 v175, v74, 0xb461, v173
	v_fma_f16 v130, v74, 0xb461, -v173
	v_add_f16_e32 v165, v175, v165
	v_mul_f16_e32 v175, 0x39e9, v172
	v_add_f16_e32 v103, v130, v103
	v_fmamk_f16 v178, v91, 0x3964, v175
	v_fmac_f16_e32 v175, 0xb964, v91
	v_add_f16_e32 v102, v178, v102
	v_mul_f16_e32 v178, 0xb5c8, v171
	v_add_f16_e32 v105, v175, v105
	v_fmamk_f16 v180, v75, 0x3b76, v178
	v_fma_f16 v130, v75, 0x3b76, -v178
	v_add_f16_e32 v165, v180, v165
	v_mul_f16_e32 v180, 0xbbdd, v177
	v_add_f16_e32 v103, v130, v103
	v_fmamk_f16 v182, v83, 0x31e1, v180
	v_fmac_f16_e32 v180, 0xb1e1, v83
	v_add_f16_e32 v102, v182, v102
	v_mul_f16_e32 v182, 0xb836, v176
	v_add_f16_e32 v105, v180, v105
	v_fmamk_f16 v183, v96, 0xbacd, v182
	v_fma_f16 v144, v96, 0xbacd, -v182
	v_add_f16_e32 v165, v183, v165
	v_mul_f16_e32 v183, 0x3bf7, v179
	v_add_f16_e32 v103, v144, v103
	v_fmamk_f16 v184, v94, 0x2de8, v183
	v_fma_f16 v144, v94, 0x2de8, -v183
	v_add_f16_e32 v165, v184, v165
	v_mul_f16_e32 v184, 0xb964, v181
	v_add_f16_e32 v103, v144, v103
	v_fmamk_f16 v185, v93, 0x39e9, v184
	v_fma_f16 v144, v93, 0x39e9, -v184
	v_add_f16_e32 v165, v185, v165
	v_mul_f16_e32 v185, 0x3722, v187
	v_add_f16_e32 v103, v144, v103
	v_fmamk_f16 v186, v80, 0xbb29, v185
	v_fmac_f16_e32 v185, 0x3b29, v80
	v_add_f16_e32 v102, v186, v102
	v_mul_f16_e32 v186, 0xb461, v100
	v_add_f16_e32 v105, v185, v105
	v_fmamk_f16 v189, v97, 0x3bb2, v186
	v_fmac_f16_e32 v186, 0xbbb2, v97
	v_add_f16_e32 v189, v143, v189
	v_add_f16_e32 v130, v143, v186
	v_add_f16_e32 v189, v191, v189
	v_mul_f16_e32 v191, 0xb1e1, v188
	v_add_f16_e32 v130, v190, v130
	v_fmamk_f16 v193, v89, 0xbbdd, v191
	v_fma_f16 v144, v89, 0xbbdd, -v191
	v_add_f16_e32 v165, v193, v165
	v_mul_f16_e32 v193, 0x39e9, v168
	v_add_f16_e32 v103, v144, v103
	v_fmamk_f16 v194, v77, 0xb964, v193
	v_fmac_f16_e32 v193, 0x3964, v77
	v_add_f16_e32 v189, v194, v189
	v_mul_f16_e32 v194, 0x3722, v104
	v_add_f16_e32 v130, v193, v130
	v_fmamk_f16 v195, v95, 0x3b29, v194
	v_fmac_f16_e32 v194, 0xbb29, v95
	;; [unrolled: 5-line block ×3, first 2 shown]
	v_add_f16_e32 v189, v196, v189
	v_mul_f16_e32 v196, 0x3836, v170
	v_add_f16_e32 v130, v195, v130
	v_fmamk_f16 v197, v74, 0xbacd, v196
	v_add_f16_e32 v160, v197, v160
	v_mul_f16_e32 v197, 0x2de8, v172
	v_fmamk_f16 v198, v91, 0xbbf7, v197
	v_fmac_f16_e32 v197, 0x3bf7, v91
	v_add_f16_e32 v189, v198, v189
	v_mul_f16_e32 v198, 0x3b29, v192
	v_add_f16_e32 v130, v197, v130
	v_fmamk_f16 v199, v81, 0x3722, v198
	v_fma_f16 v144, v81, 0x3722, -v198
	v_add_f16_e32 v165, v199, v165
	v_mul_f16_e32 v199, 0x3964, v171
	v_add_f16_e32 v103, v144, v103
	v_fma_f16 v144, v74, 0xbacd, -v196
	v_fmamk_f16 v200, v75, 0x39e9, v199
	v_fma_f16 v159, v75, 0x39e9, -v199
	v_add_f16_e32 v98, v144, v98
	v_add_f16_e32 v160, v200, v160
	v_mul_f16_e32 v200, 0x3b76, v177
	v_add_f16_e32 v98, v159, v98
	v_fmamk_f16 v201, v83, 0x35c8, v200
	v_fmac_f16_e32 v200, 0xb5c8, v83
	v_add_f16_e32 v189, v201, v189
	v_mul_f16_e32 v201, 0xbb29, v176
	v_add_f16_e32 v130, v200, v130
	v_fmamk_f16 v202, v96, 0x3722, v201
	v_add_f16_e32 v160, v202, v160
	v_mul_f16_e32 v202, 0xb1e1, v179
	v_fmamk_f16 v203, v94, 0xbbdd, v202
	v_add_f16_e32 v160, v203, v160
	v_mul_f16_e32 v203, 0x3bf7, v181
	;; [unrolled: 3-line block ×3, first 2 shown]
	v_fmamk_f16 v205, v80, 0x3a62, v204
	v_fmac_f16_e32 v204, 0xba62, v80
	v_add_f16_e32 v189, v205, v189
	v_mul_f16_e32 v205, 0x2de8, v100
	v_add_f16_e32 v130, v204, v130
	v_fmamk_f16 v206, v97, 0x3bf7, v205
	v_fmac_f16_e32 v205, 0xbbf7, v97
	v_add_f16_e32 v206, v143, v206
	v_add_f16_e32 v144, v143, v205
	v_add_f16_e32 v206, v208, v206
	v_mul_f16_e32 v208, 0xb5c8, v188
	v_add_f16_e32 v144, v207, v144
	v_fmamk_f16 v209, v89, 0x3b76, v208
	v_add_f16_e32 v160, v209, v160
	v_mul_f16_e32 v209, 0xb461, v168
	v_fmamk_f16 v210, v77, 0xbbb2, v209
	v_fmac_f16_e32 v209, 0x3bb2, v77
	v_add_f16_e32 v206, v210, v206
	v_mul_f16_e32 v210, 0x3b76, v104
	v_add_f16_e32 v144, v209, v144
	v_fmamk_f16 v211, v95, 0xb5c8, v210
	v_fmac_f16_e32 v210, 0x35c8, v95
	v_add_f16_e32 v206, v211, v206
	v_mul_f16_e32 v211, 0x3722, v106
	v_add_f16_e32 v144, v210, v144
	v_fmamk_f16 v212, v92, 0x3b29, v211
	v_fmac_f16_e32 v211, 0xbb29, v92
	v_add_f16_e32 v206, v212, v206
	v_mul_f16_e32 v212, 0xb1e1, v170
	v_add_f16_e32 v144, v211, v144
	v_fmamk_f16 v213, v74, 0xbbdd, v212
	v_fma_f16 v159, v74, 0xbbdd, -v212
	v_add_f16_e32 v161, v213, v161
	v_mul_f16_e32 v213, 0xbacd, v172
	v_add_f16_e32 v88, v159, v88
	v_fma_f16 v159, v96, 0x3722, -v201
	v_fmamk_f16 v214, v91, 0x3836, v213
	v_fmac_f16_e32 v213, 0xb836, v91
	v_add_f16_e32 v98, v159, v98
	v_add_f16_e32 v206, v214, v206
	v_mul_f16_e32 v214, 0xba62, v192
	v_add_f16_e32 v144, v213, v144
	v_fmamk_f16 v215, v81, 0xb8d2, v214
	v_add_f16_e32 v160, v215, v160
	v_mul_f16_e32 v215, 0x3bb2, v171
	v_fmamk_f16 v216, v75, 0xb461, v215
	v_fma_f16 v159, v75, 0xb461, -v215
	v_add_f16_e32 v161, v216, v161
	v_mul_f16_e32 v216, 0xb8d2, v177
	v_add_f16_e32 v88, v159, v88
	v_fma_f16 v159, v94, 0xbbdd, -v202
	v_fmamk_f16 v217, v83, 0xba62, v216
	v_fmac_f16_e32 v216, 0x3a62, v83
	v_add_f16_e32 v98, v159, v98
	v_add_f16_e32 v206, v217, v206
	v_mul_f16_e32 v217, 0x35c8, v176
	v_add_f16_e32 v144, v216, v144
	v_fmamk_f16 v218, v96, 0x3b76, v217
	v_fma_f16 v159, v96, 0x3b76, -v217
	v_add_f16_e32 v161, v218, v161
	v_mul_f16_e32 v218, 0xbb29, v179
	v_add_f16_e32 v88, v159, v88
	v_fma_f16 v159, v93, 0x2de8, -v203
	v_fmamk_f16 v219, v94, 0x3722, v218
	v_add_f16_e32 v98, v159, v98
	v_fma_f16 v159, v94, 0x3722, -v218
	v_add_f16_e32 v161, v219, v161
	v_mul_f16_e32 v219, 0xb836, v181
	v_add_f16_e32 v88, v159, v88
	v_fma_f16 v159, v89, 0x3b76, -v208
	v_fmamk_f16 v220, v93, 0xbacd, v219
	v_add_f16_e32 v98, v159, v98
	v_fma_f16 v159, v93, 0xbacd, -v219
	v_add_f16_e32 v161, v220, v161
	v_mul_f16_e32 v220, 0x39e9, v187
	v_add_f16_e32 v88, v159, v88
	v_fma_f16 v159, v81, 0xb8d2, -v214
	v_fmamk_f16 v221, v80, 0xb964, v220
	v_fmac_f16_e32 v220, 0x3964, v80
	v_add_f16_e32 v98, v159, v98
	v_add_f16_e32 v206, v221, v206
	v_mul_f16_e32 v221, 0x3722, v100
	v_add_f16_e32 v144, v220, v144
	v_fmamk_f16 v222, v97, 0x3b29, v221
	v_fmac_f16_e32 v221, 0xbb29, v97
	v_add_f16_e32 v222, v143, v222
	v_add_f16_e32 v222, v224, v222
	v_mul_f16_e32 v224, 0x3a62, v188
	v_fmamk_f16 v225, v89, 0xb8d2, v224
	v_fma_f16 v159, v89, 0xb8d2, -v224
	v_add_f16_e32 v161, v225, v161
	v_mul_f16_e32 v225, 0xbbdd, v168
	v_add_f16_e32 v88, v159, v88
	v_fmamk_f16 v226, v77, 0xb1e1, v225
	v_fmac_f16_e32 v225, 0x31e1, v77
	v_add_f16_e32 v222, v226, v222
	v_mul_f16_e32 v226, 0xb461, v104
	v_fmamk_f16 v227, v95, 0xbbb2, v226
	v_fmac_f16_e32 v226, 0x3bb2, v95
	v_add_f16_e32 v222, v227, v222
	v_mul_f16_e32 v227, 0x39e9, v106
	;; [unrolled: 4-line block ×3, first 2 shown]
	v_fmamk_f16 v229, v74, 0xb8d2, v228
	v_fma_f16 v164, v74, 0xb8d2, -v228
	v_add_f16_e32 v162, v229, v162
	v_mul_f16_e32 v229, 0x3b76, v172
	v_add_f16_e32 v85, v164, v85
	v_fmamk_f16 v230, v91, 0x35c8, v229
	v_fmac_f16_e32 v229, 0xb5c8, v91
	v_add_f16_e32 v222, v230, v222
	v_mul_f16_e32 v230, 0x3964, v192
	v_fmamk_f16 v231, v81, 0x39e9, v230
	v_fma_f16 v159, v81, 0x39e9, -v230
	v_add_f16_e32 v161, v231, v161
	v_mul_f16_e32 v231, 0x31e1, v171
	v_add_f16_e32 v88, v159, v88
	v_add_f16_e32 v159, v143, v221
	v_fmamk_f16 v232, v75, 0xbbdd, v231
	v_fma_f16 v164, v75, 0xbbdd, -v231
	v_add_f16_e32 v159, v223, v159
	v_pack_b32_f16 v79, v88, v144
	v_add_f16_e32 v162, v232, v162
	v_mul_f16_e32 v232, 0x2de8, v177
	v_add_f16_e32 v85, v164, v85
	v_add_f16_e32 v159, v225, v159
	v_fmamk_f16 v233, v83, 0x3bf7, v232
	v_fmac_f16_e32 v232, 0xbbf7, v83
	v_add_f16_e32 v159, v226, v159
	v_add_f16_e32 v222, v233, v222
	v_mul_f16_e32 v233, 0x3bb2, v176
	v_add_f16_e32 v159, v227, v159
	v_fmamk_f16 v234, v96, 0xb461, v233
	v_add_f16_e32 v159, v229, v159
	v_add_f16_e32 v162, v234, v162
	v_mul_f16_e32 v234, 0x3964, v179
	v_add_f16_e32 v159, v232, v159
	v_fmamk_f16 v235, v94, 0x39e9, v234
	v_add_f16_e32 v162, v235, v162
	v_mul_f16_e32 v235, 0xb5c8, v181
	v_fmamk_f16 v236, v93, 0x3b76, v235
	v_add_f16_e32 v162, v236, v162
	v_mul_f16_e32 v236, 0xbacd, v187
	v_fmamk_f16 v237, v80, 0x3836, v236
	v_fmac_f16_e32 v236, 0xb836, v80
	v_add_f16_e32 v222, v237, v222
	v_mul_f16_e32 v237, 0x39e9, v100
	v_mul_f16_e32 v100, 0x3b76, v100
	v_fmamk_f16 v238, v97, 0x3964, v237
	v_fmac_f16_e32 v237, 0xb964, v97
	v_add_f16_e32 v238, v143, v238
	v_add_f16_e32 v164, v143, v237
	;; [unrolled: 1-line block ×3, first 2 shown]
	v_mul_f16_e32 v240, 0xbbf7, v188
	v_add_f16_e32 v164, v239, v164
	v_fmamk_f16 v241, v89, 0x2de8, v240
	v_add_f16_e32 v162, v241, v162
	v_mul_f16_e32 v241, 0xb8d2, v168
	v_fmamk_f16 v168, v77, 0x3b29, v150
	v_fmac_f16_e32 v150, 0xbb29, v77
	v_fmamk_f16 v242, v77, 0x3a62, v241
	v_fmac_f16_e32 v241, 0xba62, v77
	v_add_f16_e32 v77, v236, v159
	v_add_f16_e32 v238, v242, v238
	v_mul_f16_e32 v242, 0xbbdd, v104
	v_mul_f16_e32 v104, 0x2de8, v104
	v_add_f16_e32 v164, v241, v164
	v_fmamk_f16 v243, v95, 0x31e1, v242
	v_fmamk_f16 v149, v95, 0x3bf7, v104
	v_fmac_f16_e32 v242, 0xb1e1, v95
	v_fmac_f16_e32 v104, 0xbbf7, v95
	v_add_f16_e32 v238, v243, v238
	v_mul_f16_e32 v243, 0xbacd, v106
	v_mul_f16_e32 v106, 0xb461, v106
	v_add_f16_e32 v164, v242, v164
	v_fmamk_f16 v244, v92, 0xb836, v243
	v_fmamk_f16 v152, v92, 0x3bb2, v106
	v_fmac_f16_e32 v243, 0x3836, v92
	v_fmac_f16_e32 v106, 0xbbb2, v92
	v_add_f16_e32 v238, v244, v238
	v_mul_f16_e32 v244, 0xbbf7, v170
	v_add_f16_e32 v164, v243, v164
	v_fmamk_f16 v245, v74, 0x2de8, v244
	v_add_f16_e32 v163, v245, v163
	v_mul_f16_e32 v245, 0xb461, v172
	v_fmamk_f16 v246, v91, 0xbbb2, v245
	v_fmac_f16_e32 v245, 0x3bb2, v91
	v_add_f16_e32 v238, v246, v238
	v_mul_f16_e32 v246, 0xb836, v192
	v_add_f16_e32 v84, v245, v164
	v_fmamk_f16 v247, v81, 0xbacd, v246
	v_add_f16_e32 v162, v247, v162
	v_mul_f16_e32 v247, 0xba62, v171
	v_fmamk_f16 v248, v75, 0xb8d2, v247
	v_add_f16_e32 v163, v248, v163
	v_mul_f16_e32 v248, 0x3722, v177
	v_fmamk_f16 v249, v83, 0xbb29, v248
	v_fmac_f16_e32 v248, 0x3b29, v83
	v_add_f16_e32 v238, v249, v238
	v_mul_f16_e32 v249, 0xb1e1, v176
	v_add_f16_e32 v84, v248, v84
	v_fmamk_f16 v250, v96, 0xbbdd, v249
	v_add_f16_e32 v163, v250, v163
	v_mul_f16_e32 v250, 0x3836, v179
	v_fmamk_f16 v251, v94, 0xbacd, v250
	v_fma_f16 v95, v94, 0xbacd, -v250
	v_add_f16_e32 v163, v251, v163
	v_mul_f16_e32 v251, 0x3bb2, v181
	v_fmamk_f16 v252, v93, 0xb461, v251
	v_fma_f16 v92, v93, 0xb461, -v251
	v_add_f16_e32 v163, v252, v163
	v_mul_f16_e32 v252, 0x3b76, v187
	v_fmamk_f16 v253, v80, 0xb5c8, v252
	v_fmac_f16_e32 v252, 0x35c8, v80
	v_add_f16_e32 v238, v253, v238
	v_fmamk_f16 v253, v97, 0x35c8, v100
	v_fmac_f16_e32 v100, 0xb5c8, v97
	v_fma_f16 v97, v89, 0x2de8, -v240
	v_add_f16_e32 v253, v143, v253
	v_add_f16_e32 v253, v254, v253
	v_mul_f16_e32 v254, 0x3b29, v188
	v_add_f16_e32 v168, v168, v253
	v_fmamk_f16 v255, v89, 0x3722, v254
	v_add_f16_e32 v149, v149, v168
	v_add_f16_e32 v163, v255, v163
	v_fmamk_f16 v168, v81, 0x3b76, v151
	v_add_f16_e32 v149, v152, v149
	v_fmamk_f16 v152, v91, 0x3a62, v148
	v_fmac_f16_e32 v148, 0xba62, v91
	v_fma_f16 v91, v89, 0x3722, -v254
	v_add_f16_e32 v163, v168, v163
	v_add_f16_e32 v149, v152, v149
	v_mul_f16_e32 v152, 0xb964, v170
	v_fmamk_f16 v153, v74, 0x39e9, v152
	v_add_f16_e32 v153, v153, v167
	v_fmamk_f16 v167, v75, 0x3722, v154
	v_add_f16_e32 v153, v167, v153
	;; [unrolled: 2-line block ×3, first 2 shown]
	v_fmamk_f16 v167, v83, 0x3836, v155
	v_fmac_f16_e32 v155, 0xb836, v83
	v_fma_f16 v83, v81, 0x3b76, -v151
	v_add_f16_e32 v149, v167, v149
	v_fmamk_f16 v167, v94, 0xb461, v156
	v_add_f16_e32 v153, v167, v153
	v_fmamk_f16 v167, v93, 0xb8d2, v146
	;; [unrolled: 2-line block ×4, first 2 shown]
	v_fmac_f16_e32 v157, 0xb1e1, v80
	v_add_f16_e32 v80, v252, v84
	v_mul_u32_u24_e32 v84, 17, v129
	v_add_f16_e32 v149, v167, v149
	v_fmamk_f16 v167, v81, 0xbbdd, v145
	v_add_f16_e32 v153, v167, v153
	v_fma_f16 v167, v96, 0xb461, -v233
	v_add_f16_e32 v85, v167, v85
	v_fma_f16 v167, v94, 0x39e9, -v234
	;; [unrolled: 2-line block ×3, first 2 shown]
	v_add_f16_e32 v85, v167, v85
	v_add_f16_e32 v85, v97, v85
	;; [unrolled: 1-line block ×3, first 2 shown]
	v_fma_f16 v100, v74, 0x2de8, -v244
	v_fma_f16 v74, v74, 0x39e9, -v152
	;; [unrolled: 1-line block ×3, first 2 shown]
	v_add_f16_e32 v97, v166, v97
	v_add_f16_e32 v78, v100, v78
	v_fma_f16 v100, v75, 0xb8d2, -v247
	v_add_f16_e32 v74, v74, v76
	v_fma_f16 v75, v75, 0x3722, -v154
	v_add_f16_e32 v97, v150, v97
	v_add_f16_e32 v85, v143, v85
	;; [unrolled: 1-line block ×3, first 2 shown]
	v_fma_f16 v100, v96, 0xbbdd, -v249
	v_add_f16_e32 v74, v75, v74
	v_fma_f16 v75, v96, 0x2de8, -v147
	v_pack_b32_f16 v77, v85, v77
	v_add_f16_e32 v76, v100, v78
	v_add_f16_e32 v78, v104, v97
	;; [unrolled: 1-line block ×3, first 2 shown]
	v_fma_f16 v75, v94, 0xb461, -v156
	v_pack_b32_f16 v94, v101, v99
	v_add_f16_e32 v76, v95, v76
	v_add_f16_e32 v78, v106, v78
	v_pack_b32_f16 v95, v165, v102
	v_add_f16_e32 v74, v75, v74
	v_fma_f16 v75, v93, 0xb8d2, -v146
	v_add_f16_e32 v76, v92, v76
	v_add_f16_e32 v78, v148, v78
	v_pack_b32_f16 v92, v160, v189
	v_pack_b32_f16 v93, v161, v206
	v_add_f16_e32 v74, v75, v74
	v_fma_f16 v75, v89, 0xbacd, -v158
	v_add_f16_e32 v76, v91, v76
	v_add_f16_e32 v78, v155, v78
	v_pack_b32_f16 v89, v162, v222
	v_pack_b32_f16 v91, v163, v238
	v_add_f16_e32 v74, v75, v74
	v_fma_f16 v75, v81, 0xbbdd, -v145
	v_add_f16_e32 v76, v83, v76
	v_lshlrev_b32_e32 v81, 2, v84
	v_pack_b32_f16 v83, v153, v149
	v_pack_b32_f16 v84, v127, v128
	v_add_f16_e32 v78, v157, v78
	v_add_f16_e32 v74, v75, v74
	v_pack_b32_f16 v75, v86, v82
	v_pack_b32_f16 v82, v90, v87
	ds_write2_b32 v81, v84, v83 offset1:1
	ds_write2_b32 v81, v91, v89 offset0:2 offset1:3
	ds_write2_b32 v81, v93, v92 offset0:4 offset1:5
	;; [unrolled: 1-line block ×3, first 2 shown]
	v_pack_b32_f16 v83, v103, v105
	v_pack_b32_f16 v84, v98, v130
	;; [unrolled: 1-line block ×4, first 2 shown]
	ds_write2_b32 v81, v82, v75 offset0:8 offset1:9
	ds_write2_b32 v81, v73, v83 offset0:10 offset1:11
	;; [unrolled: 1-line block ×4, first 2 shown]
	ds_write_b32 v81, v74 offset:64
.LBB0_13:
	s_or_b32 exec_lo, exec_lo, s0
	v_add_nc_u32_e32 v89, 0x600, v107
	v_add_nc_u32_e32 v86, 0x1000, v107
	;; [unrolled: 1-line block ×3, first 2 shown]
	s_waitcnt lgkmcnt(0)
	s_barrier
	buffer_gl0_inv
	ds_read2_b32 v[75:76], v107 offset1:51
	ds_read2_b32 v[77:78], v107 offset0:102 offset1:153
	ds_read2_b32 v[73:74], v89 offset0:126 offset1:177
	;; [unrolled: 1-line block ×6, first 2 shown]
	v_add_nc_u32_e32 v90, 0x1400, v107
	v_add_nc_u32_e32 v87, 0xc00, v107
	ds_read2_b32 v[143:144], v88 offset0:202 offset1:253
	ds_read2_b32 v[145:146], v90 offset0:46 offset1:97
	;; [unrolled: 1-line block ×5, first 2 shown]
	v_add_nc_u32_e32 v85, 0x1600, v107
	v_add_nc_u32_e32 v91, 0xe00, v107
	ds_read_b32 v166, v107 offset:6528
	v_add_nc_u32_e32 v92, 0x400, v107
	s_mov_b32 s4, 0x87d568ce
	ds_read2_b32 v[153:154], v85 offset0:122 offset1:173
	ds_read2_b32 v[155:156], v91 offset0:124 offset1:175
	s_mov_b32 s5, 0x3f437851
	s_waitcnt lgkmcnt(13)
	v_lshrrev_b32_e32 v93, 16, v77
	s_waitcnt lgkmcnt(12)
	v_lshrrev_b32_e32 v106, 16, v74
	;; [unrolled: 2-line block ×4, first 2 shown]
	v_mul_f16_sdwa v179, v47, v74 dst_sel:DWORD dst_unused:UNUSED_PAD src0_sel:WORD_1 src1_sel:DWORD
	v_lshrrev_b32_e32 v159, 16, v105
	v_mul_f16_sdwa v177, v47, v106 dst_sel:DWORD dst_unused:UNUSED_PAD src0_sel:WORD_1 src1_sel:DWORD
	v_mul_f16_sdwa v181, v48, v157 dst_sel:DWORD dst_unused:UNUSED_PAD src0_sel:WORD_1 src1_sel:DWORD
	v_lshrrev_b32_e32 v160, 16, v128
	s_waitcnt lgkmcnt(9)
	v_lshrrev_b32_e32 v161, 16, v129
	s_waitcnt lgkmcnt(7)
	v_lshrrev_b32_e32 v162, 16, v143
	v_fmac_f16_e32 v177, v47, v74
	v_mul_f16_sdwa v74, v48, v104 dst_sel:DWORD dst_unused:UNUSED_PAD src0_sel:WORD_1 src1_sel:DWORD
	v_fma_f16 v47, v47, v106, -v179
	v_mul_f16_sdwa v106, v43, v158 dst_sel:DWORD dst_unused:UNUSED_PAD src0_sel:WORD_1 src1_sel:DWORD
	v_fmac_f16_e32 v181, v48, v104
	v_mul_f16_sdwa v104, v43, v127 dst_sel:DWORD dst_unused:UNUSED_PAD src0_sel:WORD_1 src1_sel:DWORD
	v_fma_f16 v48, v48, v157, -v74
	v_mul_f16_sdwa v74, v44, v159 dst_sel:DWORD dst_unused:UNUSED_PAD src0_sel:WORD_1 src1_sel:DWORD
	;; [unrolled: 4-line block ×4, first 2 shown]
	v_lshrrev_b32_e32 v163, 16, v130
	v_fmac_f16_e32 v104, v41, v128
	v_mul_f16_sdwa v128, v42, v129 dst_sel:DWORD dst_unused:UNUSED_PAD src0_sel:WORD_1 src1_sel:DWORD
	v_lshrrev_b32_e32 v164, 16, v144
	v_fma_f16 v41, v41, v160, -v105
	v_mul_f16_sdwa v105, v39, v162 dst_sel:DWORD dst_unused:UNUSED_PAD src0_sel:WORD_1 src1_sel:DWORD
	v_fmac_f16_e32 v127, v42, v129
	v_mul_f16_sdwa v129, v39, v143 dst_sel:DWORD dst_unused:UNUSED_PAD src0_sel:WORD_1 src1_sel:DWORD
	v_fma_f16 v42, v42, v161, -v128
	v_mul_f16_sdwa v128, v40, v163 dst_sel:DWORD dst_unused:UNUSED_PAD src0_sel:WORD_1 src1_sel:DWORD
	s_waitcnt lgkmcnt(6)
	v_lshrrev_b32_e32 v165, 16, v145
	v_fmac_f16_e32 v105, v39, v143
	v_mul_f16_sdwa v143, v40, v130 dst_sel:DWORD dst_unused:UNUSED_PAD src0_sel:WORD_1 src1_sel:DWORD
	v_fma_f16 v39, v39, v162, -v129
	v_mul_f16_sdwa v129, v37, v164 dst_sel:DWORD dst_unused:UNUSED_PAD src0_sel:WORD_1 src1_sel:DWORD
	s_waitcnt lgkmcnt(5)
	v_lshrrev_b32_e32 v167, 16, v147
	v_fmac_f16_e32 v128, v40, v130
	v_mul_f16_sdwa v130, v37, v144 dst_sel:DWORD dst_unused:UNUSED_PAD src0_sel:WORD_1 src1_sel:DWORD
	v_lshrrev_b32_e32 v168, 16, v146
	v_fma_f16 v40, v40, v163, -v143
	v_mul_f16_sdwa v143, v38, v165 dst_sel:DWORD dst_unused:UNUSED_PAD src0_sel:WORD_1 src1_sel:DWORD
	v_fmac_f16_e32 v129, v37, v144
	v_mul_f16_sdwa v144, v38, v145 dst_sel:DWORD dst_unused:UNUSED_PAD src0_sel:WORD_1 src1_sel:DWORD
	v_fma_f16 v37, v37, v164, -v130
	v_mul_f16_sdwa v130, v35, v167 dst_sel:DWORD dst_unused:UNUSED_PAD src0_sel:WORD_1 src1_sel:DWORD
	v_lshrrev_b32_e32 v169, 16, v148
	v_fmac_f16_e32 v143, v38, v145
	v_mul_f16_sdwa v145, v35, v147 dst_sel:DWORD dst_unused:UNUSED_PAD src0_sel:WORD_1 src1_sel:DWORD
	v_fma_f16 v38, v38, v165, -v144
	v_mul_f16_sdwa v144, v36, v168 dst_sel:DWORD dst_unused:UNUSED_PAD src0_sel:WORD_1 src1_sel:DWORD
	s_waitcnt lgkmcnt(4)
	v_lshrrev_b32_e32 v170, 16, v149
	v_fmac_f16_e32 v130, v35, v147
	v_mul_f16_sdwa v147, v36, v146 dst_sel:DWORD dst_unused:UNUSED_PAD src0_sel:WORD_1 src1_sel:DWORD
	s_waitcnt lgkmcnt(3)
	v_lshrrev_b32_e32 v171, 16, v151
	v_fma_f16 v35, v35, v167, -v145
	v_mul_f16_sdwa v145, v33, v169 dst_sel:DWORD dst_unused:UNUSED_PAD src0_sel:WORD_1 src1_sel:DWORD
	v_fmac_f16_e32 v144, v36, v146
	v_mul_f16_sdwa v146, v33, v148 dst_sel:DWORD dst_unused:UNUSED_PAD src0_sel:WORD_1 src1_sel:DWORD
	v_fma_f16 v36, v36, v168, -v147
	v_mul_f16_sdwa v147, v34, v170 dst_sel:DWORD dst_unused:UNUSED_PAD src0_sel:WORD_1 src1_sel:DWORD
	v_lshrrev_b32_e32 v172, 16, v150
	v_fmac_f16_e32 v145, v33, v148
	v_mul_f16_sdwa v148, v34, v149 dst_sel:DWORD dst_unused:UNUSED_PAD src0_sel:WORD_1 src1_sel:DWORD
	v_fma_f16 v33, v33, v169, -v146
	v_mul_f16_sdwa v146, v31, v171 dst_sel:DWORD dst_unused:UNUSED_PAD src0_sel:WORD_1 src1_sel:DWORD
	v_lshrrev_b32_e32 v173, 16, v152
	v_fmac_f16_e32 v147, v34, v149
	v_mul_f16_sdwa v149, v31, v151 dst_sel:DWORD dst_unused:UNUSED_PAD src0_sel:WORD_1 src1_sel:DWORD
	s_waitcnt lgkmcnt(1)
	v_lshrrev_b32_e32 v174, 16, v153
	v_fma_f16 v34, v34, v170, -v148
	v_mul_f16_sdwa v148, v32, v172 dst_sel:DWORD dst_unused:UNUSED_PAD src0_sel:WORD_1 src1_sel:DWORD
	v_fmac_f16_e32 v146, v31, v151
	v_mul_f16_sdwa v151, v32, v150 dst_sel:DWORD dst_unused:UNUSED_PAD src0_sel:WORD_1 src1_sel:DWORD
	v_fma_f16 v31, v31, v171, -v149
	v_mul_f16_sdwa v149, v29, v173 dst_sel:DWORD dst_unused:UNUSED_PAD src0_sel:WORD_1 src1_sel:DWORD
	s_waitcnt lgkmcnt(0)
	v_lshrrev_b32_e32 v175, 16, v155
	v_fmac_f16_e32 v148, v32, v150
	v_mul_f16_sdwa v150, v29, v152 dst_sel:DWORD dst_unused:UNUSED_PAD src0_sel:WORD_1 src1_sel:DWORD
	v_fma_f16 v32, v32, v172, -v151
	v_mul_f16_sdwa v151, v30, v174 dst_sel:DWORD dst_unused:UNUSED_PAD src0_sel:WORD_1 src1_sel:DWORD
	v_lshrrev_b32_e32 v176, 16, v154
	v_fmac_f16_e32 v149, v29, v152
	v_mul_f16_sdwa v152, v30, v153 dst_sel:DWORD dst_unused:UNUSED_PAD src0_sel:WORD_1 src1_sel:DWORD
	v_lshrrev_b32_e32 v178, 16, v156
	v_fma_f16 v29, v29, v173, -v150
	v_mul_f16_sdwa v150, v27, v175 dst_sel:DWORD dst_unused:UNUSED_PAD src0_sel:WORD_1 src1_sel:DWORD
	v_fmac_f16_e32 v151, v30, v153
	v_mul_f16_sdwa v153, v27, v155 dst_sel:DWORD dst_unused:UNUSED_PAD src0_sel:WORD_1 src1_sel:DWORD
	v_fma_f16 v30, v30, v174, -v152
	v_mul_f16_sdwa v152, v28, v176 dst_sel:DWORD dst_unused:UNUSED_PAD src0_sel:WORD_1 src1_sel:DWORD
	v_lshrrev_b32_e32 v180, 16, v166
	v_fmac_f16_e32 v150, v27, v155
	v_mul_f16_sdwa v155, v28, v154 dst_sel:DWORD dst_unused:UNUSED_PAD src0_sel:WORD_1 src1_sel:DWORD
	v_fma_f16 v27, v27, v175, -v153
	v_mul_f16_sdwa v153, v25, v178 dst_sel:DWORD dst_unused:UNUSED_PAD src0_sel:WORD_1 src1_sel:DWORD
	v_fmac_f16_e32 v152, v28, v154
	v_mul_f16_sdwa v154, v25, v156 dst_sel:DWORD dst_unused:UNUSED_PAD src0_sel:WORD_1 src1_sel:DWORD
	v_fma_f16 v28, v28, v176, -v155
	v_mul_f16_sdwa v155, v26, v180 dst_sel:DWORD dst_unused:UNUSED_PAD src0_sel:WORD_1 src1_sel:DWORD
	v_fmac_f16_e32 v153, v25, v156
	v_mul_f16_sdwa v156, v26, v166 dst_sel:DWORD dst_unused:UNUSED_PAD src0_sel:WORD_1 src1_sel:DWORD
	v_lshrrev_b32_e32 v96, 16, v75
	v_fma_f16 v25, v25, v178, -v154
	v_add_f16_e32 v154, v177, v181
	v_fmac_f16_e32 v155, v26, v166
	v_fma_f16 v26, v26, v180, -v156
	v_add_f16_e32 v156, v47, v48
	v_add_f16_e32 v157, v75, v177
	v_fma_f16 v75, -0.5, v154, v75
	v_sub_f16_e32 v154, v47, v48
	v_add_f16_e32 v47, v96, v47
	v_fmac_f16_e32 v96, -0.5, v156
	v_sub_f16_e32 v156, v177, v181
	v_lshrrev_b32_e32 v94, 16, v76
	v_fmamk_f16 v158, v154, 0xbaee, v75
	v_add_f16_e32 v47, v47, v48
	v_add_f16_e32 v48, v106, v74
	v_fmac_f16_e32 v75, 0x3aee, v154
	v_fmamk_f16 v154, v156, 0x3aee, v96
	v_add_f16_e32 v159, v76, v106
	v_fmac_f16_e32 v96, 0xbaee, v156
	v_add_f16_e32 v156, v43, v44
	v_fmac_f16_e32 v76, -0.5, v48
	v_sub_f16_e32 v48, v43, v44
	v_add_f16_e32 v43, v94, v43
	v_add_f16_e32 v159, v159, v74
	v_fmac_f16_e32 v94, -0.5, v156
	v_sub_f16_e32 v74, v106, v74
	v_fmamk_f16 v106, v48, 0xbaee, v76
	v_add_f16_e32 v43, v43, v44
	v_add_f16_e32 v44, v104, v127
	v_fmac_f16_e32 v76, 0x3aee, v48
	v_fmamk_f16 v48, v74, 0x3aee, v94
	v_fmac_f16_e32 v94, 0xbaee, v74
	v_add_f16_e32 v74, v41, v42
	v_add_f16_e32 v156, v77, v104
	v_fma_f16 v44, -0.5, v44, v77
	v_sub_f16_e32 v77, v41, v42
	v_add_f16_e32 v41, v93, v41
	v_fmac_f16_e32 v93, -0.5, v74
	v_sub_f16_e32 v74, v104, v127
	v_lshrrev_b32_e32 v102, 16, v78
	v_fmamk_f16 v104, v77, 0xbaee, v44
	v_add_f16_e32 v41, v41, v42
	v_add_f16_e32 v42, v105, v128
	v_fmac_f16_e32 v44, 0x3aee, v77
	v_fmamk_f16 v77, v74, 0x3aee, v93
	v_fmac_f16_e32 v93, 0xbaee, v74
	v_add_f16_e32 v74, v39, v40
	v_add_f16_e32 v156, v156, v127
	;; [unrolled: 1-line block ×3, first 2 shown]
	v_fmac_f16_e32 v78, -0.5, v42
	v_sub_f16_e32 v42, v39, v40
	v_add_f16_e32 v39, v102, v39
	v_fmac_f16_e32 v102, -0.5, v74
	v_sub_f16_e32 v74, v105, v128
	ds_read2_b32 v[81:82], v92 offset0:50 offset1:101
	v_lshrrev_b32_e32 v101, 16, v79
	v_add_f16_e32 v39, v39, v40
	v_add_f16_e32 v40, v129, v143
	v_fmamk_f16 v105, v42, 0xbaee, v78
	v_fmac_f16_e32 v78, 0x3aee, v42
	v_fmamk_f16 v42, v74, 0x3aee, v102
	v_fmac_f16_e32 v102, 0xbaee, v74
	v_add_f16_e32 v74, v37, v38
	v_add_f16_e32 v127, v127, v128
	;; [unrolled: 1-line block ×3, first 2 shown]
	v_fma_f16 v40, -0.5, v40, v79
	v_sub_f16_e32 v79, v37, v38
	v_add_f16_e32 v37, v101, v37
	v_fmac_f16_e32 v101, -0.5, v74
	v_sub_f16_e32 v74, v129, v143
	v_lshrrev_b32_e32 v103, 16, v80
	v_fmamk_f16 v129, v79, 0xbaee, v40
	v_add_f16_e32 v37, v37, v38
	v_add_f16_e32 v38, v130, v144
	v_fmac_f16_e32 v40, 0x3aee, v79
	v_fmamk_f16 v79, v74, 0x3aee, v101
	v_fmac_f16_e32 v101, 0xbaee, v74
	v_add_f16_e32 v74, v35, v36
	v_add_f16_e32 v128, v128, v143
	;; [unrolled: 1-line block ×3, first 2 shown]
	v_fmac_f16_e32 v80, -0.5, v38
	v_sub_f16_e32 v38, v35, v36
	v_add_f16_e32 v35, v103, v35
	v_fmac_f16_e32 v103, -0.5, v74
	v_sub_f16_e32 v74, v130, v144
	ds_read2_b32 v[83:84], v92 offset0:152 offset1:203
	s_waitcnt lgkmcnt(1)
	v_lshrrev_b32_e32 v100, 16, v81
	v_add_f16_e32 v35, v35, v36
	v_add_f16_e32 v36, v145, v147
	v_fmamk_f16 v130, v38, 0xbaee, v80
	v_fmac_f16_e32 v80, 0x3aee, v38
	v_fmamk_f16 v38, v74, 0x3aee, v103
	v_fmac_f16_e32 v103, 0xbaee, v74
	v_add_f16_e32 v74, v33, v34
	v_add_f16_e32 v143, v143, v144
	;; [unrolled: 1-line block ×3, first 2 shown]
	v_fma_f16 v36, -0.5, v36, v81
	v_sub_f16_e32 v81, v33, v34
	v_add_f16_e32 v33, v100, v33
	v_fmac_f16_e32 v100, -0.5, v74
	v_sub_f16_e32 v74, v145, v147
	v_lshrrev_b32_e32 v99, 16, v82
	v_fmamk_f16 v145, v81, 0xbaee, v36
	v_add_f16_e32 v33, v33, v34
	v_add_f16_e32 v34, v146, v148
	v_fmac_f16_e32 v36, 0x3aee, v81
	v_fmamk_f16 v81, v74, 0x3aee, v100
	v_fmac_f16_e32 v100, 0xbaee, v74
	v_add_f16_e32 v74, v31, v32
	v_add_f16_e32 v144, v144, v147
	;; [unrolled: 1-line block ×3, first 2 shown]
	v_fmac_f16_e32 v82, -0.5, v34
	v_sub_f16_e32 v34, v31, v32
	v_add_f16_e32 v31, v99, v31
	v_fmac_f16_e32 v99, -0.5, v74
	v_sub_f16_e32 v74, v146, v148
	s_waitcnt lgkmcnt(0)
	v_lshrrev_b32_e32 v98, 16, v83
	v_fmamk_f16 v146, v34, 0xbaee, v82
	v_add_f16_e32 v31, v31, v32
	v_add_f16_e32 v32, v149, v151
	v_fmac_f16_e32 v82, 0x3aee, v34
	v_fmamk_f16 v34, v74, 0x3aee, v99
	v_fmac_f16_e32 v99, 0xbaee, v74
	v_add_f16_e32 v74, v29, v30
	v_add_f16_e32 v147, v147, v148
	;; [unrolled: 1-line block ×3, first 2 shown]
	v_fma_f16 v32, -0.5, v32, v83
	v_sub_f16_e32 v83, v29, v30
	v_add_f16_e32 v29, v98, v29
	v_fmac_f16_e32 v98, -0.5, v74
	v_sub_f16_e32 v74, v149, v151
	v_lshrrev_b32_e32 v97, 16, v84
	v_fmamk_f16 v149, v83, 0xbaee, v32
	v_add_f16_e32 v29, v29, v30
	v_add_f16_e32 v30, v150, v152
	v_fmac_f16_e32 v32, 0x3aee, v83
	v_fmamk_f16 v83, v74, 0x3aee, v98
	v_fmac_f16_e32 v98, 0xbaee, v74
	v_add_f16_e32 v74, v27, v28
	v_add_f16_e32 v148, v148, v151
	;; [unrolled: 1-line block ×3, first 2 shown]
	v_fmac_f16_e32 v84, -0.5, v30
	v_sub_f16_e32 v30, v27, v28
	v_add_f16_e32 v27, v97, v27
	v_fmac_f16_e32 v97, -0.5, v74
	v_sub_f16_e32 v74, v150, v152
	v_lshrrev_b32_e32 v95, 16, v73
	v_fmamk_f16 v150, v30, 0xbaee, v84
	v_add_f16_e32 v27, v27, v28
	v_add_f16_e32 v28, v153, v155
	v_fmac_f16_e32 v84, 0x3aee, v30
	v_fmamk_f16 v30, v74, 0x3aee, v97
	v_fmac_f16_e32 v97, 0xbaee, v74
	v_add_f16_e32 v74, v25, v26
	v_add_f16_e32 v157, v157, v181
	;; [unrolled: 1-line block ×4, first 2 shown]
	v_fmac_f16_e32 v73, -0.5, v28
	v_sub_f16_e32 v28, v25, v26
	v_add_f16_e32 v25, v95, v25
	v_fmac_f16_e32 v95, -0.5, v74
	v_sub_f16_e32 v74, v153, v155
	v_fmamk_f16 v153, v28, 0xbaee, v73
	v_fmac_f16_e32 v73, 0x3aee, v28
	v_pack_b32_f16 v28, v157, v47
	v_pack_b32_f16 v47, v158, v154
	v_add_f16_e32 v25, v25, v26
	v_fmamk_f16 v26, v74, 0x3aee, v95
	v_fmac_f16_e32 v95, 0xbaee, v74
	v_pack_b32_f16 v74, v75, v96
	s_barrier
	buffer_gl0_inv
	ds_write2_b32 v131, v28, v47 offset1:17
	ds_write_b32 v131, v74 offset:136
	v_pack_b32_f16 v28, v159, v43
	v_pack_b32_f16 v43, v106, v48
	;; [unrolled: 1-line block ×8, first 2 shown]
	ds_write2_b32 v132, v28, v43 offset1:17
	ds_write_b32 v132, v47 offset:136
	ds_write2_b32 v133, v41, v48 offset1:17
	ds_write_b32 v133, v44 offset:136
	ds_write2_b32 v134, v39, v42 offset1:17
	v_pack_b32_f16 v28, v78, v102
	v_pack_b32_f16 v37, v128, v37
	;; [unrolled: 1-line block ×7, first 2 shown]
	ds_write_b32 v134, v28 offset:136
	ds_write2_b32 v135, v37, v39 offset1:17
	ds_write_b32 v135, v40 offset:136
	ds_write2_b32 v138, v35, v38 offset1:17
	ds_write_b32 v138, v41 offset:136
	v_pack_b32_f16 v28, v144, v33
	v_pack_b32_f16 v33, v145, v81
	;; [unrolled: 1-line block ×5, first 2 shown]
	v_add_f16_e32 v152, v152, v155
	v_pack_b32_f16 v36, v82, v99
	v_pack_b32_f16 v29, v148, v29
	;; [unrolled: 1-line block ×3, first 2 shown]
	ds_write2_b32 v136, v28, v33 offset1:17
	ds_write_b32 v136, v35 offset:136
	ds_write2_b32 v139, v31, v34 offset1:17
	ds_write_b32 v139, v36 offset:136
	ds_write2_b32 v137, v29, v37 offset1:17
	v_pack_b32_f16 v28, v32, v98
	v_pack_b32_f16 v27, v151, v27
	;; [unrolled: 1-line block ×7, first 2 shown]
	ds_write_b32 v137, v28 offset:136
	ds_write2_b32 v140, v27, v29 offset1:17
	ds_write_b32 v140, v30 offset:136
	ds_write2_b32 v141, v25, v26 offset1:17
	ds_write_b32 v141, v31 offset:136
	s_waitcnt lgkmcnt(0)
	s_barrier
	buffer_gl0_inv
	ds_read2_b32 v[25:26], v107 offset0:102 offset1:153
	ds_read2_b32 v[29:30], v92 offset0:50 offset1:101
	;; [unrolled: 1-line block ×14, first 2 shown]
	ds_read2_b32 v[27:28], v107 offset1:51
	ds_read2_b32 v[131:132], v90 offset0:148 offset1:199
	ds_read_b32 v133, v107 offset:6528
	s_waitcnt lgkmcnt(0)
	s_barrier
	buffer_gl0_inv
	v_lshrrev_b32_e32 v31, 16, v26
	v_lshrrev_b32_e32 v32, 16, v29
	;; [unrolled: 1-line block ×4, first 2 shown]
	v_mul_f16_sdwa v36, v0, v26 dst_sel:DWORD dst_unused:UNUSED_PAD src0_sel:WORD_1 src1_sel:DWORD
	v_mul_f16_sdwa v147, v0, v31 dst_sel:DWORD dst_unused:UNUSED_PAD src0_sel:WORD_1 src1_sel:DWORD
	;; [unrolled: 1-line block ×4, first 2 shown]
	v_lshrrev_b32_e32 v35, 16, v42
	v_lshrrev_b32_e32 v48, 16, v75
	v_fmac_f16_e32 v147, v0, v26
	v_mul_f16_sdwa v26, v2, v38 dst_sel:DWORD dst_unused:UNUSED_PAD src0_sel:WORD_1 src1_sel:DWORD
	v_mul_f16_sdwa v93, v1, v29 dst_sel:DWORD dst_unused:UNUSED_PAD src0_sel:WORD_1 src1_sel:DWORD
	v_fma_f16 v150, v0, v31, -v36
	v_fmac_f16_e32 v149, v1, v29
	v_mul_f16_sdwa v36, v3, v34 dst_sel:DWORD dst_unused:UNUSED_PAD src0_sel:WORD_1 src1_sel:DWORD
	v_fmac_f16_e32 v151, v2, v38
	v_mul_f16_sdwa v29, v3, v39 dst_sel:DWORD dst_unused:UNUSED_PAD src0_sel:WORD_1 src1_sel:DWORD
	v_fma_f16 v38, v2, v33, -v26
	v_mul_f16_sdwa v26, v12, v42 dst_sel:DWORD dst_unused:UNUSED_PAD src0_sel:WORD_1 src1_sel:DWORD
	v_lshrrev_b32_e32 v47, 16, v43
	v_fmac_f16_e32 v36, v3, v39
	v_fma_f16 v39, v3, v34, -v29
	v_mul_f16_sdwa v29, v13, v43 dst_sel:DWORD dst_unused:UNUSED_PAD src0_sel:WORD_1 src1_sel:DWORD
	v_fma_f16 v34, v12, v35, -v26
	v_mul_f16_sdwa v153, v14, v48 dst_sel:DWORD dst_unused:UNUSED_PAD src0_sel:WORD_1 src1_sel:DWORD
	v_mul_f16_sdwa v26, v14, v75 dst_sel:DWORD dst_unused:UNUSED_PAD src0_sel:WORD_1 src1_sel:DWORD
	v_lshrrev_b32_e32 v73, 16, v76
	v_lshrrev_b32_e32 v78, 16, v81
	;; [unrolled: 1-line block ×3, first 2 shown]
	v_fma_f16 v152, v1, v32, -v93
	v_mul_f16_sdwa v32, v12, v35 dst_sel:DWORD dst_unused:UNUSED_PAD src0_sel:WORD_1 src1_sel:DWORD
	v_fma_f16 v35, v13, v47, -v29
	v_fmac_f16_e32 v153, v14, v75
	v_fma_f16 v75, v14, v48, -v26
	v_mul_f16_sdwa v26, v15, v76 dst_sel:DWORD dst_unused:UNUSED_PAD src0_sel:WORD_1 src1_sel:DWORD
	v_mul_f16_sdwa v29, v49, v81 dst_sel:DWORD dst_unused:UNUSED_PAD src0_sel:WORD_1 src1_sel:DWORD
	v_lshrrev_b32_e32 v79, 16, v101
	v_mul_f16_sdwa v154, v15, v73 dst_sel:DWORD dst_unused:UNUSED_PAD src0_sel:WORD_1 src1_sel:DWORD
	v_mul_f16_sdwa v155, v49, v78 dst_sel:DWORD dst_unused:UNUSED_PAD src0_sel:WORD_1 src1_sel:DWORD
	v_fma_f16 v156, v15, v73, -v26
	v_mul_f16_sdwa v26, v50, v101 dst_sel:DWORD dst_unused:UNUSED_PAD src0_sel:WORD_1 src1_sel:DWORD
	v_fma_f16 v157, v49, v78, -v29
	v_mul_f16_sdwa v78, v0, v82 dst_sel:DWORD dst_unused:UNUSED_PAD src0_sel:WORD_1 src1_sel:DWORD
	v_mul_f16_sdwa v29, v0, v103 dst_sel:DWORD dst_unused:UNUSED_PAD src0_sel:WORD_1 src1_sel:DWORD
	v_lshrrev_b32_e32 v84, 16, v105
	v_fmac_f16_e32 v154, v15, v76
	v_mul_f16_sdwa v76, v50, v79 dst_sel:DWORD dst_unused:UNUSED_PAD src0_sel:WORD_1 src1_sel:DWORD
	v_fma_f16 v158, v50, v79, -v26
	v_fmac_f16_e32 v78, v0, v103
	v_fma_f16 v79, v0, v82, -v29
	v_mul_f16_sdwa v0, v2, v105 dst_sel:DWORD dst_unused:UNUSED_PAD src0_sel:WORD_1 src1_sel:DWORD
	v_lshrrev_b32_e32 v83, 16, v30
	v_lshrrev_b32_e32 v96, 16, v127
	;; [unrolled: 1-line block ×3, first 2 shown]
	v_mul_f16_sdwa v26, v1, v30 dst_sel:DWORD dst_unused:UNUSED_PAD src0_sel:WORD_1 src1_sel:DWORD
	v_fma_f16 v94, v2, v84, -v0
	v_mul_f16_sdwa v0, v12, v127 dst_sel:DWORD dst_unused:UNUSED_PAD src0_sel:WORD_1 src1_sel:DWORD
	v_mul_f16_sdwa v97, v1, v83 dst_sel:DWORD dst_unused:UNUSED_PAD src0_sel:WORD_1 src1_sel:DWORD
	v_lshrrev_b32_e32 v95, 16, v40
	v_lshrrev_b32_e32 v134, 16, v77
	;; [unrolled: 1-line block ×3, first 2 shown]
	v_fma_f16 v48, v12, v96, -v0
	v_mul_f16_sdwa v0, v14, v129 dst_sel:DWORD dst_unused:UNUSED_PAD src0_sel:WORD_1 src1_sel:DWORD
	v_mul_f16_sdwa v93, v2, v84 dst_sel:DWORD dst_unused:UNUSED_PAD src0_sel:WORD_1 src1_sel:DWORD
	v_fmac_f16_e32 v97, v1, v30
	v_fma_f16 v98, v1, v83, -v26
	v_mul_f16_sdwa v1, v3, v40 dst_sel:DWORD dst_unused:UNUSED_PAD src0_sel:WORD_1 src1_sel:DWORD
	v_fma_f16 v84, v14, v100, -v0
	v_mul_f16_sdwa v0, v15, v77 dst_sel:DWORD dst_unused:UNUSED_PAD src0_sel:WORD_1 src1_sel:DWORD
	v_lshrrev_b32_e32 v99, 16, v44
	v_fmac_f16_e32 v32, v12, v42
	v_fmac_f16_e32 v76, v50, v101
	v_mul_f16_sdwa v42, v12, v96 dst_sel:DWORD dst_unused:UNUSED_PAD src0_sel:WORD_1 src1_sel:DWORD
	v_fma_f16 v82, v3, v95, -v1
	v_mul_f16_sdwa v1, v13, v44 dst_sel:DWORD dst_unused:UNUSED_PAD src0_sel:WORD_1 src1_sel:DWORD
	v_mul_f16_sdwa v101, v50, v136 dst_sel:DWORD dst_unused:UNUSED_PAD src0_sel:WORD_1 src1_sel:DWORD
	v_fma_f16 v96, v15, v134, -v0
	v_mul_f16_sdwa v0, v50, v102 dst_sel:DWORD dst_unused:UNUSED_PAD src0_sel:WORD_1 src1_sel:DWORD
	v_lshrrev_b32_e32 v135, 16, v131
	v_lshrrev_b32_e32 v138, 16, v37
	v_fmac_f16_e32 v155, v49, v81
	v_mul_f16_sdwa v81, v3, v95 dst_sel:DWORD dst_unused:UNUSED_PAD src0_sel:WORD_1 src1_sel:DWORD
	v_mul_f16_sdwa v83, v14, v100 dst_sel:DWORD dst_unused:UNUSED_PAD src0_sel:WORD_1 src1_sel:DWORD
	v_fma_f16 v73, v13, v99, -v1
	v_mul_f16_sdwa v95, v15, v134 dst_sel:DWORD dst_unused:UNUSED_PAD src0_sel:WORD_1 src1_sel:DWORD
	v_mul_f16_sdwa v1, v49, v131 dst_sel:DWORD dst_unused:UNUSED_PAD src0_sel:WORD_1 src1_sel:DWORD
	v_fmac_f16_e32 v101, v50, v102
	v_fma_f16 v102, v50, v136, -v0
	v_mul_f16_sdwa v0, v9, v37 dst_sel:DWORD dst_unused:UNUSED_PAD src0_sel:WORD_1 src1_sel:DWORD
	v_lshrrev_b32_e32 v137, 16, v104
	v_lshrrev_b32_e32 v139, 16, v106
	;; [unrolled: 1-line block ×4, first 2 shown]
	v_mul_f16_sdwa v33, v13, v47 dst_sel:DWORD dst_unused:UNUSED_PAD src0_sel:WORD_1 src1_sel:DWORD
	v_fmac_f16_e32 v93, v2, v105
	v_mul_f16_sdwa v47, v13, v99 dst_sel:DWORD dst_unused:UNUSED_PAD src0_sel:WORD_1 src1_sel:DWORD
	v_fmac_f16_e32 v83, v14, v129
	v_fmac_f16_e32 v95, v15, v77
	v_fma_f16 v100, v49, v135, -v1
	v_mul_f16_sdwa v1, v8, v104 dst_sel:DWORD dst_unused:UNUSED_PAD src0_sel:WORD_1 src1_sel:DWORD
	v_mul_f16_sdwa v14, v9, v138 dst_sel:DWORD dst_unused:UNUSED_PAD src0_sel:WORD_1 src1_sel:DWORD
	v_fma_f16 v15, v9, v138, -v0
	v_mul_f16_sdwa v0, v10, v106 dst_sel:DWORD dst_unused:UNUSED_PAD src0_sel:WORD_1 src1_sel:DWORD
	v_mul_f16_sdwa v2, v11, v41 dst_sel:DWORD dst_unused:UNUSED_PAD src0_sel:WORD_1 src1_sel:DWORD
	v_lshrrev_b32_e32 v143, 16, v74
	v_fmac_f16_e32 v33, v13, v43
	v_fmac_f16_e32 v47, v13, v44
	v_fma_f16 v31, v8, v137, -v1
	v_fmac_f16_e32 v14, v9, v37
	v_mul_f16_sdwa v1, v4, v141 dst_sel:DWORD dst_unused:UNUSED_PAD src0_sel:WORD_1 src1_sel:DWORD
	v_fma_f16 v13, v10, v139, -v0
	v_mul_f16_sdwa v0, v4, v128 dst_sel:DWORD dst_unused:UNUSED_PAD src0_sel:WORD_1 src1_sel:DWORD
	v_fma_f16 v9, v11, v140, -v2
	v_add_f16_e32 v2, v27, v147
	v_fmac_f16_e32 v81, v3, v40
	v_fmac_f16_e32 v1, v4, v128
	v_fma_f16 v4, v4, v141, -v0
	v_mul_f16_sdwa v3, v5, v143 dst_sel:DWORD dst_unused:UNUSED_PAD src0_sel:WORD_1 src1_sel:DWORD
	v_mul_f16_sdwa v0, v5, v74 dst_sel:DWORD dst_unused:UNUSED_PAD src0_sel:WORD_1 src1_sel:DWORD
	v_add_f16_e32 v2, v2, v149
	v_fmac_f16_e32 v42, v12, v127
	v_mul_f16_sdwa v30, v8, v137 dst_sel:DWORD dst_unused:UNUSED_PAD src0_sel:WORD_1 src1_sel:DWORD
	v_fmac_f16_e32 v3, v5, v74
	v_fma_f16 v5, v5, v143, -v0
	v_add_f16_e32 v0, v2, v151
	v_mul_f16_sdwa v12, v10, v139 dst_sel:DWORD dst_unused:UNUSED_PAD src0_sel:WORD_1 src1_sel:DWORD
	v_fmac_f16_e32 v30, v8, v104
	v_mul_f16_sdwa v8, v11, v140 dst_sel:DWORD dst_unused:UNUSED_PAD src0_sel:WORD_1 src1_sel:DWORD
	v_lshrrev_b32_e32 v144, 16, v130
	v_add_f16_e32 v0, v0, v36
	v_fmac_f16_e32 v12, v10, v106
	v_add_f16_sdwa v10, v27, v150 dst_sel:DWORD dst_unused:UNUSED_PAD src0_sel:WORD_1 src1_sel:DWORD
	v_lshrrev_b32_e32 v145, 16, v80
	v_fmac_f16_e32 v8, v11, v41
	v_add_f16_e32 v0, v0, v32
	v_lshrrev_b32_e32 v146, 16, v132
	v_add_f16_e32 v11, v10, v152
	v_mul_f16_sdwa v10, v6, v144 dst_sel:DWORD dst_unused:UNUSED_PAD src0_sel:WORD_1 src1_sel:DWORD
	v_mul_f16_sdwa v26, v6, v130 dst_sel:DWORD dst_unused:UNUSED_PAD src0_sel:WORD_1 src1_sel:DWORD
	v_add_f16_e32 v0, v0, v33
	v_mul_f16_sdwa v29, v7, v80 dst_sel:DWORD dst_unused:UNUSED_PAD src0_sel:WORD_1 src1_sel:DWORD
	v_add_f16_e32 v2, v11, v38
	v_mul_f16_sdwa v11, v7, v145 dst_sel:DWORD dst_unused:UNUSED_PAD src0_sel:WORD_1 src1_sel:DWORD
	v_sub_f16_e32 v37, v150, v158
	v_add_f16_e32 v0, v0, v153
	v_fmac_f16_e32 v10, v6, v130
	v_fma_f16 v6, v6, v144, -v26
	v_fmac_f16_e32 v11, v7, v80
	v_fma_f16 v7, v7, v145, -v29
	v_mul_f16_sdwa v26, v45, v146 dst_sel:DWORD dst_unused:UNUSED_PAD src0_sel:WORD_1 src1_sel:DWORD
	v_mul_f16_sdwa v29, v45, v132 dst_sel:DWORD dst_unused:UNUSED_PAD src0_sel:WORD_1 src1_sel:DWORD
	v_add_f16_e32 v0, v0, v154
	v_add_f16_e32 v41, v147, v76
	v_mul_f16_e32 v44, 0xb853, v37
	v_lshrrev_b32_e32 v148, 16, v133
	v_mul_f16_sdwa v99, v49, v135 dst_sel:DWORD dst_unused:UNUSED_PAD src0_sel:WORD_1 src1_sel:DWORD
	v_fmac_f16_e32 v26, v45, v132
	v_fma_f16 v29, v45, v146, -v29
	v_mul_f16_sdwa v40, v46, v133 dst_sel:DWORD dst_unused:UNUSED_PAD src0_sel:WORD_1 src1_sel:DWORD
	v_add_f16_e32 v45, v150, v158
	v_add_f16_e32 v0, v0, v155
	v_fmamk_f16 v50, v41, 0x3abb, v44
	v_fmac_f16_e32 v99, v49, v131
	v_mul_f16_sdwa v43, v46, v148 dst_sel:DWORD dst_unused:UNUSED_PAD src0_sel:WORD_1 src1_sel:DWORD
	v_sub_f16_e32 v49, v147, v76
	v_mul_f16_e32 v77, 0x3abb, v45
	v_fma_f16 v74, v46, v148, -v40
	v_add_f16_e32 v0, v0, v76
	v_add_f16_e32 v40, v27, v50
	v_mul_f16_e32 v50, 0xbb47, v37
	v_mul_f16_e32 v76, 0x36a6, v45
	;; [unrolled: 1-line block ×8, first 2 shown]
	v_sub_f16_e32 v134, v152, v157
	v_add_f16_e32 v136, v152, v157
	v_fmac_f16_e32 v43, v46, v133
	v_fmamk_f16 v46, v49, 0x3853, v77
	v_fma_f16 v44, v41, 0x3abb, -v44
	v_fmac_f16_e32 v77, 0xb853, v49
	v_fmamk_f16 v80, v41, 0x36a6, v50
	v_fmamk_f16 v103, v49, 0x3b47, v76
	v_fma_f16 v50, v41, 0x36a6, -v50
	v_fmac_f16_e32 v76, 0xbb47, v49
	v_fmamk_f16 v105, v41, 0xb08e, v104
	v_fmamk_f16 v128, v49, 0x3beb, v106
	v_fma_f16 v104, v41, 0xb08e, -v104
	v_fmac_f16_e32 v106, 0xbbeb, v49
	v_fmamk_f16 v129, v41, 0xb93d, v127
	v_fmamk_f16 v131, v49, 0x3a0c, v130
	v_fma_f16 v127, v41, 0xb93d, -v127
	v_fmac_f16_e32 v130, 0xba0c, v49
	v_fmamk_f16 v132, v41, 0xbbad, v37
	v_fmamk_f16 v133, v49, 0x3482, v45
	v_add_f16_e32 v135, v149, v155
	v_mul_f16_e32 v137, 0xbb47, v134
	v_fma_f16 v37, v41, 0xbbad, -v37
	v_fmac_f16_e32 v45, 0xb482, v49
	v_sub_f16_e32 v41, v149, v155
	v_mul_f16_e32 v49, 0x36a6, v136
	v_add_f16_sdwa v46, v27, v46 dst_sel:DWORD dst_unused:UNUSED_PAD src0_sel:WORD_1 src1_sel:DWORD
	v_add_f16_e32 v44, v27, v44
	v_add_f16_sdwa v77, v27, v77 dst_sel:DWORD dst_unused:UNUSED_PAD src0_sel:WORD_1 src1_sel:DWORD
	v_add_f16_e32 v80, v27, v80
	;; [unrolled: 2-line block ×8, first 2 shown]
	v_add_f16_sdwa v133, v27, v133 dst_sel:DWORD dst_unused:UNUSED_PAD src0_sel:WORD_1 src1_sel:DWORD
	v_fmamk_f16 v138, v135, 0x36a6, v137
	v_add_f16_e32 v37, v27, v37
	v_add_f16_sdwa v27, v27, v45 dst_sel:DWORD dst_unused:UNUSED_PAD src0_sel:WORD_1 src1_sel:DWORD
	v_mul_f16_e32 v45, 0xba0c, v134
	v_fmamk_f16 v139, v41, 0x3b47, v49
	v_add_f16_e32 v40, v138, v40
	v_fma_f16 v137, v135, 0x36a6, -v137
	v_fmac_f16_e32 v49, 0xbb47, v41
	v_fmamk_f16 v138, v135, 0xb93d, v45
	v_add_f16_e32 v46, v139, v46
	v_mul_f16_e32 v139, 0xb93d, v136
	v_add_f16_e32 v44, v137, v44
	v_add_f16_e32 v49, v49, v77
	;; [unrolled: 1-line block ×3, first 2 shown]
	v_mul_f16_e32 v80, 0x3482, v134
	v_fmamk_f16 v137, v41, 0x3a0c, v139
	v_fma_f16 v45, v135, 0xb93d, -v45
	v_fmac_f16_e32 v139, 0xba0c, v41
	v_mul_f16_e32 v138, 0xbbad, v136
	v_fmamk_f16 v140, v135, 0xbbad, v80
	v_fma_f16 v80, v135, 0xbbad, -v80
	v_add_f16_e32 v45, v45, v50
	v_add_f16_e32 v50, v139, v76
	v_fmamk_f16 v76, v41, 0xb482, v138
	v_fmac_f16_e32 v138, 0x3482, v41
	v_add_f16_e32 v80, v80, v104
	v_add_f16_e32 v103, v137, v103
	v_mul_f16_e32 v137, 0x3beb, v134
	v_add_f16_e32 v76, v76, v128
	v_mul_f16_e32 v128, 0xb08e, v136
	;; [unrolled: 2-line block ×3, first 2 shown]
	v_fmamk_f16 v139, v135, 0xb08e, v137
	v_fma_f16 v137, v135, 0xb08e, -v137
	v_fmamk_f16 v134, v41, 0xbbeb, v128
	v_fmac_f16_e32 v128, 0x3beb, v41
	v_fmamk_f16 v138, v135, 0x3abb, v106
	v_fma_f16 v106, v135, 0x3abb, -v106
	v_add_f16_e32 v127, v137, v127
	v_add_f16_e32 v131, v134, v131
	v_mul_f16_e32 v134, 0x3abb, v136
	v_add_f16_e32 v128, v128, v130
	v_add_f16_e32 v130, v138, v132
	v_sub_f16_e32 v132, v38, v156
	v_add_f16_e32 v38, v38, v156
	v_fmamk_f16 v136, v41, 0xb853, v134
	v_add_f16_e32 v135, v151, v154
	v_fmac_f16_e32 v134, 0x3853, v41
	v_mul_f16_e32 v137, 0xbbeb, v132
	v_sub_f16_e32 v41, v151, v154
	v_mul_f16_e32 v138, 0xb08e, v38
	v_add_f16_e32 v133, v136, v133
	v_add_f16_e32 v37, v106, v37
	v_fmamk_f16 v136, v135, 0xb08e, v137
	v_add_f16_e32 v27, v134, v27
	v_fmamk_f16 v106, v41, 0x3beb, v138
	v_mul_f16_e32 v134, 0x3482, v132
	v_add_f16_e32 v129, v139, v129
	v_add_f16_e32 v40, v136, v40
	v_fma_f16 v136, v135, 0xb08e, -v137
	v_add_f16_e32 v46, v106, v46
	v_fmamk_f16 v106, v135, 0xbbad, v134
	v_mul_f16_e32 v137, 0xbbad, v38
	v_fma_f16 v134, v135, 0xbbad, -v134
	v_mul_f16_e32 v139, 0x36a6, v38
	v_fmac_f16_e32 v138, 0xbbeb, v41
	v_add_f16_e32 v77, v106, v77
	v_fmamk_f16 v106, v41, 0xb482, v137
	v_add_f16_e32 v45, v134, v45
	v_mul_f16_e32 v134, 0xb853, v132
	v_add_f16_e32 v44, v136, v44
	v_mul_f16_e32 v136, 0x3b47, v132
	v_add_f16_e32 v103, v106, v103
	v_fmamk_f16 v106, v41, 0xbb47, v139
	v_fmac_f16_e32 v137, 0x3482, v41
	v_add_f16_e32 v2, v2, v39
	v_add_f16_e32 v49, v138, v49
	v_fmamk_f16 v138, v135, 0x36a6, v136
	v_add_f16_e32 v76, v106, v76
	v_fmamk_f16 v106, v135, 0x3abb, v134
	v_add_f16_e32 v50, v137, v50
	v_fma_f16 v136, v135, 0x36a6, -v136
	v_mul_f16_e32 v137, 0x3abb, v38
	v_mul_f16_e32 v132, 0xba0c, v132
	v_add_f16_e32 v106, v106, v129
	v_fma_f16 v129, v135, 0x3abb, -v134
	v_add_f16_e32 v2, v2, v34
	v_add_f16_e32 v80, v136, v80
	v_fmamk_f16 v136, v41, 0x3853, v137
	v_fmamk_f16 v134, v135, 0xb93d, v132
	v_mul_f16_e32 v38, 0xb93d, v38
	v_add_f16_e32 v127, v129, v127
	v_sub_f16_e32 v129, v39, v75
	v_add_f16_e32 v39, v39, v75
	v_add_f16_e32 v2, v2, v35
	v_fmac_f16_e32 v139, 0x3b47, v41
	v_fmac_f16_e32 v137, 0xb853, v41
	v_add_f16_e32 v131, v136, v131
	v_add_f16_e32 v130, v134, v130
	v_fmamk_f16 v134, v41, 0x3a0c, v38
	v_add_f16_e32 v136, v36, v153
	v_fma_f16 v132, v135, 0xb93d, -v132
	v_fmac_f16_e32 v38, 0xba0c, v41
	v_sub_f16_e32 v36, v36, v153
	v_mul_f16_e32 v41, 0xb93d, v39
	v_add_f16_e32 v2, v2, v75
	v_mul_f16_e32 v75, 0xba0c, v129
	v_add_f16_e32 v37, v132, v37
	v_add_f16_e32 v27, v38, v27
	v_fmamk_f16 v38, v36, 0x3a0c, v41
	v_mul_f16_e32 v132, 0x3beb, v129
	v_fmac_f16_e32 v41, 0xba0c, v36
	v_add_f16_e32 v105, v140, v105
	v_fmamk_f16 v135, v136, 0xb93d, v75
	v_add_f16_e32 v133, v134, v133
	v_fma_f16 v75, v136, 0xb93d, -v75
	v_add_f16_e32 v38, v38, v46
	v_mul_f16_e32 v46, 0xb08e, v39
	v_fmamk_f16 v134, v136, 0xb08e, v132
	v_add_f16_e32 v41, v41, v49
	v_mul_f16_e32 v49, 0xb853, v129
	v_add_f16_e32 v105, v138, v105
	v_add_f16_e32 v44, v75, v44
	v_fmamk_f16 v75, v36, 0xbbeb, v46
	v_add_f16_e32 v77, v134, v77
	v_fmac_f16_e32 v46, 0x3beb, v36
	v_fmamk_f16 v134, v136, 0x3abb, v49
	v_fma_f16 v132, v136, 0xb08e, -v132
	v_add_f16_e32 v75, v75, v103
	v_mul_f16_e32 v103, 0x3abb, v39
	v_add_f16_e32 v46, v46, v50
	v_add_f16_e32 v50, v134, v105
	v_mul_f16_e32 v105, 0xb482, v129
	v_fma_f16 v49, v136, 0x3abb, -v49
	v_mul_f16_e32 v134, 0xbbad, v39
	v_add_f16_e32 v104, v139, v104
	v_add_f16_e32 v40, v135, v40
	;; [unrolled: 1-line block ×3, first 2 shown]
	v_fmamk_f16 v132, v36, 0x3853, v103
	v_fmac_f16_e32 v103, 0xb853, v36
	v_fmamk_f16 v135, v136, 0xbbad, v105
	v_add_f16_e32 v49, v49, v80
	v_fmamk_f16 v80, v36, 0x3482, v134
	v_mul_f16_e32 v39, 0x36a6, v39
	v_add_f16_e32 v103, v103, v104
	v_add_f16_e32 v104, v135, v106
	v_mul_f16_e32 v106, 0x3b47, v129
	v_fma_f16 v105, v136, 0xbbad, -v105
	v_add_f16_e32 v80, v80, v131
	v_fmamk_f16 v131, v36, 0xbb47, v39
	v_add_f16_e32 v128, v137, v128
	v_fmamk_f16 v129, v136, 0x36a6, v106
	v_add_f16_e32 v105, v105, v127
	v_sub_f16_e32 v127, v34, v35
	v_add_f16_e32 v131, v131, v133
	v_add_f16_e32 v133, v34, v35
	;; [unrolled: 1-line block ×3, first 2 shown]
	v_fmac_f16_e32 v134, 0xb482, v36
	v_add_f16_e32 v129, v129, v130
	v_add_f16_e32 v130, v32, v33
	v_mul_f16_e32 v132, 0xb482, v127
	v_fma_f16 v34, v136, 0x36a6, -v106
	v_fmac_f16_e32 v39, 0x3b47, v36
	v_sub_f16_e32 v106, v32, v33
	v_mul_f16_e32 v33, 0xbbad, v133
	v_add_f16_e32 v128, v134, v128
	v_fmamk_f16 v35, v130, 0xbbad, v132
	v_add_f16_e32 v134, v34, v37
	v_add_f16_e32 v135, v39, v27
	v_mul_f16_e32 v36, 0x3853, v127
	v_fmamk_f16 v27, v106, 0x3482, v33
	v_mul_f16_e32 v37, 0x3abb, v133
	v_add_f16_e32 v32, v35, v40
	v_fma_f16 v35, v130, 0xbbad, -v132
	v_fmamk_f16 v39, v130, 0x3abb, v36
	v_add_f16_e32 v34, v27, v38
	v_fmamk_f16 v38, v106, 0xb853, v37
	v_mul_f16_e32 v40, 0xba0c, v127
	v_fma_f16 v36, v130, 0x3abb, -v36
	v_fmac_f16_e32 v37, 0x3853, v106
	v_fmac_f16_e32 v33, 0xb482, v106
	v_add_f16_e32 v27, v35, v44
	v_add_f16_e32 v35, v39, v77
	v_mul_f16_e32 v44, 0xb93d, v133
	v_add_f16_e32 v39, v38, v75
	v_fmamk_f16 v38, v130, 0xb93d, v40
	v_fma_f16 v75, v130, 0xb93d, -v40
	v_add_f16_e32 v36, v36, v45
	v_add_f16_e32 v37, v37, v46
	;; [unrolled: 1-line block ×3, first 2 shown]
	v_add_f16_sdwa v46, v28, v79 dst_sel:DWORD dst_unused:UNUSED_PAD src0_sel:WORD_1 src1_sel:DWORD
	v_add_f16_e32 v33, v33, v41
	v_fmamk_f16 v41, v106, 0x3a0c, v44
	v_add_f16_e32 v40, v38, v50
	v_add_f16_e32 v38, v75, v49
	v_fmac_f16_e32 v44, 0xba0c, v106
	v_mul_f16_e32 v49, 0x3b47, v127
	v_mul_f16_e32 v50, 0x36a6, v133
	v_add_f16_e32 v45, v45, v97
	v_add_f16_e32 v46, v46, v98
	;; [unrolled: 1-line block ×4, first 2 shown]
	v_fmamk_f16 v75, v130, 0x36a6, v49
	v_fmamk_f16 v76, v106, 0xbb47, v50
	v_add_f16_e32 v103, v45, v93
	v_add_f16_e32 v132, v46, v94
	v_fma_f16 v77, v130, 0x36a6, -v49
	v_add_f16_e32 v46, v75, v104
	v_add_f16_e32 v49, v76, v80
	;; [unrolled: 1-line block ×5, first 2 shown]
	v_mul_f16_e32 v77, 0xbbeb, v127
	v_mul_f16_e32 v80, 0xb08e, v133
	v_add_f16_e32 v75, v75, v42
	v_add_f16_e32 v76, v76, v48
	v_fmac_f16_e32 v50, 0x3b47, v106
	v_fmamk_f16 v103, v130, 0xb08e, v77
	v_fmamk_f16 v104, v106, 0x3beb, v80
	v_add_f16_e32 v105, v75, v47
	v_add_f16_e32 v127, v76, v73
	v_fmac_f16_e32 v80, 0xbbeb, v106
	v_add_f16_e32 v75, v103, v129
	v_add_f16_e32 v76, v104, v131
	;; [unrolled: 1-line block ×4, first 2 shown]
	v_sub_f16_e32 v105, v79, v102
	v_add_f16_e32 v106, v78, v101
	v_add_f16_e32 v50, v50, v128
	;; [unrolled: 1-line block ×4, first 2 shown]
	v_mul_f16_e32 v127, 0xb853, v105
	v_add_f16_e32 v128, v79, v102
	v_fma_f16 v77, v130, 0xb08e, -v77
	v_add_f16_e32 v79, v103, v99
	v_add_f16_e32 v103, v104, v100
	v_fmamk_f16 v129, v106, 0x3abb, v127
	v_sub_f16_e32 v104, v78, v101
	v_mul_f16_e32 v130, 0x3abb, v128
	v_add_f16_e32 v80, v80, v135
	v_add_f16_e32 v78, v79, v101
	v_add_f16_e32 v79, v103, v102
	v_add_f16_e32 v101, v28, v129
	v_mul_f16_e32 v103, 0xbb47, v105
	v_mul_f16_e32 v129, 0x36a6, v128
	;; [unrolled: 1-line block ×8, first 2 shown]
	v_sub_f16_e32 v144, v98, v100
	v_add_f16_e32 v98, v98, v100
	v_add_f16_e32 v77, v77, v134
	v_fmamk_f16 v102, v104, 0x3853, v130
	v_fma_f16 v127, v106, 0x3abb, -v127
	v_fmac_f16_e32 v130, 0xb853, v104
	v_fmamk_f16 v131, v106, 0x36a6, v103
	v_fmamk_f16 v132, v104, 0x3b47, v129
	v_fma_f16 v103, v106, 0x36a6, -v103
	v_fmac_f16_e32 v129, 0xbb47, v104
	v_fmamk_f16 v134, v106, 0xb08e, v133
	;; [unrolled: 4-line block ×4, first 2 shown]
	v_fmamk_f16 v143, v104, 0x3482, v128
	v_add_f16_e32 v145, v97, v99
	v_mul_f16_e32 v100, 0xbb47, v144
	v_fma_f16 v105, v106, 0xbbad, -v105
	v_fmac_f16_e32 v128, 0xb482, v104
	v_sub_f16_e32 v97, v97, v99
	v_mul_f16_e32 v99, 0x36a6, v98
	v_add_f16_sdwa v102, v28, v102 dst_sel:DWORD dst_unused:UNUSED_PAD src0_sel:WORD_1 src1_sel:DWORD
	v_add_f16_e32 v127, v28, v127
	v_add_f16_sdwa v130, v28, v130 dst_sel:DWORD dst_unused:UNUSED_PAD src0_sel:WORD_1 src1_sel:DWORD
	v_add_f16_e32 v131, v28, v131
	;; [unrolled: 2-line block ×8, first 2 shown]
	v_add_f16_sdwa v143, v28, v143 dst_sel:DWORD dst_unused:UNUSED_PAD src0_sel:WORD_1 src1_sel:DWORD
	v_fmamk_f16 v104, v145, 0x36a6, v100
	v_add_f16_e32 v105, v28, v105
	v_add_f16_sdwa v28, v28, v128 dst_sel:DWORD dst_unused:UNUSED_PAD src0_sel:WORD_1 src1_sel:DWORD
	v_mul_f16_e32 v106, 0xba0c, v144
	v_fmamk_f16 v128, v97, 0x3b47, v99
	v_add_f16_e32 v101, v104, v101
	v_fma_f16 v100, v145, 0x36a6, -v100
	v_fmac_f16_e32 v99, 0xbb47, v97
	v_fmamk_f16 v104, v145, 0xb93d, v106
	v_add_f16_e32 v102, v128, v102
	v_mul_f16_e32 v128, 0xb93d, v98
	v_add_f16_e32 v100, v100, v127
	v_add_f16_e32 v99, v99, v130
	;; [unrolled: 1-line block ×3, first 2 shown]
	v_mul_f16_e32 v127, 0x3482, v144
	v_fmamk_f16 v130, v97, 0x3a0c, v128
	v_fma_f16 v106, v145, 0xb93d, -v106
	v_fmac_f16_e32 v128, 0xba0c, v97
	v_mul_f16_e32 v131, 0xbbad, v98
	v_fmamk_f16 v146, v145, 0xbbad, v127
	v_add_f16_e32 v130, v130, v132
	v_add_f16_e32 v103, v106, v103
	;; [unrolled: 1-line block ×3, first 2 shown]
	v_fmamk_f16 v128, v97, 0xb482, v131
	v_mul_f16_e32 v132, 0x3beb, v144
	v_fma_f16 v127, v145, 0xbbad, -v127
	v_add_f16_e32 v129, v146, v134
	v_fmac_f16_e32 v131, 0x3482, v97
	v_add_f16_e32 v128, v128, v137
	v_fmamk_f16 v137, v145, 0xb08e, v132
	v_add_f16_e32 v127, v127, v133
	v_mul_f16_e32 v133, 0x3853, v144
	v_mul_f16_e32 v134, 0xb08e, v98
	v_fma_f16 v132, v145, 0xb08e, -v132
	v_add_f16_e32 v137, v137, v138
	v_add_f16_e32 v131, v131, v135
	v_fmamk_f16 v138, v145, 0x3abb, v133
	v_fmamk_f16 v135, v97, 0xbbeb, v134
	v_fmac_f16_e32 v134, 0x3beb, v97
	v_mul_f16_e32 v98, 0x3abb, v98
	v_add_f16_e32 v132, v132, v136
	v_add_f16_e32 v136, v138, v141
	v_sub_f16_e32 v138, v94, v96
	v_add_f16_e32 v94, v94, v96
	v_add_f16_e32 v135, v135, v140
	;; [unrolled: 1-line block ×3, first 2 shown]
	v_fmamk_f16 v139, v97, 0xb853, v98
	v_fma_f16 v133, v145, 0x3abb, -v133
	v_add_f16_e32 v96, v93, v95
	v_mul_f16_e32 v140, 0xbbeb, v138
	v_fmac_f16_e32 v98, 0x3853, v97
	v_sub_f16_e32 v93, v93, v95
	v_mul_f16_e32 v95, 0xb08e, v94
	v_add_f16_e32 v97, v139, v143
	v_fmamk_f16 v139, v96, 0xb08e, v140
	v_add_f16_e32 v105, v133, v105
	v_add_f16_e32 v28, v98, v28
	v_fmamk_f16 v98, v93, 0x3beb, v95
	v_mul_f16_e32 v133, 0x3482, v138
	v_fmac_f16_e32 v95, 0xbbeb, v93
	v_add_f16_e32 v101, v139, v101
	v_fma_f16 v139, v96, 0xb08e, -v140
	v_add_f16_e32 v98, v98, v102
	v_fmamk_f16 v102, v96, 0xbbad, v133
	v_mul_f16_e32 v140, 0xbbad, v94
	v_add_f16_e32 v95, v95, v99
	v_mul_f16_e32 v99, 0x3b47, v138
	v_add_f16_e32 v100, v139, v100
	v_add_f16_e32 v102, v102, v104
	v_fmamk_f16 v104, v93, 0xb482, v140
	v_fma_f16 v133, v96, 0xbbad, -v133
	v_fmamk_f16 v139, v96, 0x36a6, v99
	v_mul_f16_e32 v141, 0x36a6, v94
	v_fma_f16 v99, v96, 0x36a6, -v99
	v_add_f16_e32 v104, v104, v130
	v_add_f16_e32 v103, v133, v103
	;; [unrolled: 1-line block ×3, first 2 shown]
	v_fmamk_f16 v130, v93, 0xbb47, v141
	v_mul_f16_e32 v133, 0xb853, v138
	v_fmac_f16_e32 v141, 0x3b47, v93
	v_mul_f16_e32 v139, 0x3abb, v94
	v_add_f16_e32 v99, v99, v127
	v_add_f16_e32 v128, v130, v128
	v_fmamk_f16 v130, v96, 0x3abb, v133
	v_add_f16_e32 v127, v141, v131
	v_fmamk_f16 v131, v93, 0x3853, v139
	v_mul_f16_e32 v138, 0xba0c, v138
	v_fma_f16 v133, v96, 0x3abb, -v133
	v_fmac_f16_e32 v139, 0xb853, v93
	v_mul_f16_e32 v94, 0xb93d, v94
	v_add_f16_e32 v131, v131, v135
	v_fmamk_f16 v135, v96, 0xb93d, v138
	v_add_f16_e32 v132, v133, v132
	v_add_f16_e32 v133, v139, v134
	v_sub_f16_e32 v134, v82, v84
	v_add_f16_e32 v82, v82, v84
	v_add_f16_e32 v130, v130, v137
	;; [unrolled: 1-line block ×3, first 2 shown]
	v_fmamk_f16 v136, v93, 0x3a0c, v94
	v_add_f16_e32 v137, v81, v83
	v_mul_f16_e32 v84, 0xba0c, v134
	v_fmac_f16_e32 v94, 0xba0c, v93
	v_sub_f16_e32 v81, v81, v83
	v_mul_f16_e32 v83, 0xb93d, v82
	v_fmac_f16_e32 v140, 0x3482, v93
	v_fmamk_f16 v93, v137, 0xb93d, v84
	v_add_f16_e32 v28, v94, v28
	v_fma_f16 v96, v96, 0xb93d, -v138
	v_fmamk_f16 v94, v81, 0x3a0c, v83
	v_fma_f16 v84, v137, 0xb93d, -v84
	v_add_f16_e32 v93, v93, v101
	v_mul_f16_e32 v101, 0x3beb, v134
	v_fmac_f16_e32 v83, 0xba0c, v81
	v_add_f16_e32 v94, v94, v98
	v_mul_f16_e32 v98, 0xb08e, v82
	v_add_f16_e32 v96, v96, v105
	v_fmamk_f16 v105, v137, 0xb08e, v101
	v_add_f16_e32 v84, v84, v100
	v_add_f16_e32 v83, v83, v95
	v_mul_f16_e32 v95, 0xb853, v134
	v_fmamk_f16 v100, v81, 0xbbeb, v98
	v_add_f16_e32 v106, v140, v106
	v_add_f16_e32 v102, v105, v102
	v_fma_f16 v101, v137, 0xb08e, -v101
	v_fmac_f16_e32 v98, 0x3beb, v81
	v_fmamk_f16 v105, v137, 0x3abb, v95
	v_add_f16_e32 v100, v100, v104
	v_mul_f16_e32 v104, 0x3abb, v82
	v_add_f16_e32 v101, v101, v103
	v_add_f16_e32 v98, v98, v106
	;; [unrolled: 1-line block ×3, first 2 shown]
	v_mul_f16_e32 v105, 0xb482, v134
	v_fmamk_f16 v106, v81, 0x3853, v104
	v_fma_f16 v95, v137, 0x3abb, -v95
	v_mul_f16_e32 v129, 0xbbad, v82
	v_add_f16_e32 v97, v136, v97
	v_fmac_f16_e32 v104, 0xb853, v81
	v_fmamk_f16 v136, v137, 0xbbad, v105
	v_add_f16_e32 v106, v106, v128
	v_add_f16_e32 v95, v95, v99
	v_fmamk_f16 v99, v81, 0x3482, v129
	v_mul_f16_e32 v128, 0x3b47, v134
	v_add_f16_e32 v104, v104, v127
	v_add_f16_e32 v127, v136, v130
	v_fmac_f16_e32 v129, 0xb482, v81
	v_add_f16_e32 v99, v99, v131
	v_fmamk_f16 v130, v137, 0x36a6, v128
	v_sub_f16_e32 v131, v48, v73
	v_fma_f16 v105, v137, 0xbbad, -v105
	v_mul_f16_e32 v82, 0x36a6, v82
	v_add_f16_e32 v129, v129, v133
	v_add_f16_e32 v130, v130, v135
	;; [unrolled: 1-line block ×3, first 2 shown]
	v_mul_f16_e32 v134, 0xb482, v131
	v_add_f16_e32 v135, v48, v73
	v_add_f16_e32 v105, v105, v132
	v_fmamk_f16 v132, v81, 0xbb47, v82
	v_fma_f16 v48, v137, 0x36a6, -v128
	v_fmac_f16_e32 v82, 0x3b47, v81
	v_fmamk_f16 v73, v133, 0xbbad, v134
	v_sub_f16_e32 v128, v42, v47
	v_mul_f16_e32 v47, 0xbbad, v135
	v_add_f16_e32 v136, v48, v96
	v_add_f16_e32 v137, v82, v28
	;; [unrolled: 1-line block ×3, first 2 shown]
	v_fma_f16 v73, v133, 0xbbad, -v134
	v_fmamk_f16 v42, v128, 0x3482, v47
	v_mul_f16_e32 v82, 0x3abb, v135
	v_mul_f16_e32 v81, 0x3853, v131
	v_fmac_f16_e32 v47, 0xb482, v128
	v_add_f16_e32 v132, v132, v97
	v_add_f16_e32 v48, v42, v94
	;; [unrolled: 1-line block ×3, first 2 shown]
	v_fmamk_f16 v84, v128, 0xb853, v82
	v_fmac_f16_e32 v82, 0x3853, v128
	v_fmamk_f16 v93, v133, 0x3abb, v81
	v_add_f16_e32 v47, v47, v83
	v_mul_f16_e32 v83, 0xba0c, v131
	v_mul_f16_e32 v96, 0xb93d, v135
	v_fma_f16 v81, v133, 0x3abb, -v81
	v_add_f16_e32 v82, v82, v98
	v_mul_f16_e32 v97, 0x3b47, v131
	v_add_f16_e32 v98, v25, v30
	v_add_f16_e32 v73, v93, v102
	;; [unrolled: 1-line block ×3, first 2 shown]
	v_fmamk_f16 v93, v133, 0xb93d, v83
	v_fmamk_f16 v94, v128, 0x3a0c, v96
	v_fma_f16 v83, v133, 0xb93d, -v83
	v_add_f16_e32 v81, v81, v101
	v_fmac_f16_e32 v96, 0xba0c, v128
	v_add_f16_sdwa v100, v25, v31 dst_sel:DWORD dst_unused:UNUSED_PAD src0_sel:WORD_1 src1_sel:DWORD
	v_mul_f16_e32 v101, 0x36a6, v135
	v_fmamk_f16 v102, v133, 0x36a6, v97
	v_add_f16_e32 v98, v98, v14
	v_add_f16_e32 v93, v93, v103
	;; [unrolled: 1-line block ×5, first 2 shown]
	v_fmamk_f16 v103, v128, 0xbb47, v101
	v_add_f16_e32 v96, v102, v127
	v_add_f16_e32 v102, v98, v12
	v_fma_f16 v97, v133, 0x36a6, -v97
	v_add_f16_e32 v100, v100, v13
	v_add_f16_e32 v98, v103, v99
	v_mul_f16_e32 v103, 0xbbeb, v131
	v_add_f16_e32 v99, v102, v8
	v_add_f16_e32 v97, v97, v105
	;; [unrolled: 1-line block ×4, first 2 shown]
	v_fmamk_f16 v102, v133, 0xb08e, v103
	v_add_f16_e32 v105, v99, v1
	v_fmac_f16_e32 v101, 0x3b47, v128
	v_mul_f16_e32 v104, 0xb08e, v135
	v_add_f16_e32 v106, v100, v4
	v_add_f16_e32 v100, v102, v130
	;; [unrolled: 1-line block ×4, first 2 shown]
	v_fmamk_f16 v101, v128, 0x3beb, v104
	v_add_f16_e32 v105, v106, v5
	v_fma_f16 v103, v133, 0xb08e, -v103
	v_fmac_f16_e32 v104, 0xbbeb, v128
	v_add_f16_e32 v106, v102, v10
	v_add_f16_e32 v127, v30, v43
	;; [unrolled: 1-line block ×5, first 2 shown]
	v_sub_f16_e32 v104, v31, v74
	v_add_f16_e32 v106, v106, v11
	v_add_f16_e32 v105, v105, v7
	;; [unrolled: 1-line block ×4, first 2 shown]
	v_mul_f16_e32 v129, 0xb853, v104
	v_add_f16_e32 v31, v106, v26
	v_add_f16_e32 v105, v105, v29
	v_sub_f16_e32 v106, v30, v43
	v_mul_f16_e32 v130, 0x3abb, v128
	v_fmamk_f16 v131, v127, 0x3abb, v129
	v_add_f16_e32 v30, v31, v43
	v_mul_f16_e32 v43, 0xbb47, v104
	v_mul_f16_e32 v132, 0x36a6, v128
	;; [unrolled: 1-line block ×8, first 2 shown]
	v_sub_f16_e32 v144, v15, v29
	v_add_f16_e32 v15, v15, v29
	v_add_f16_e32 v31, v105, v74
	v_fmamk_f16 v74, v106, 0x3853, v130
	v_add_f16_e32 v105, v25, v131
	v_fma_f16 v129, v127, 0x3abb, -v129
	v_fmac_f16_e32 v130, 0xb853, v106
	v_fmamk_f16 v131, v127, 0x36a6, v43
	v_fmamk_f16 v134, v106, 0x3b47, v132
	v_fma_f16 v43, v127, 0x36a6, -v43
	v_fmac_f16_e32 v132, 0xbb47, v106
	v_fmamk_f16 v136, v127, 0xb08e, v133
	v_fmamk_f16 v137, v106, 0x3beb, v135
	;; [unrolled: 4-line block ×4, first 2 shown]
	v_fma_f16 v104, v127, 0xbbad, -v104
	v_add_f16_e32 v29, v14, v26
	v_mul_f16_e32 v127, 0xbb47, v144
	v_fmac_f16_e32 v128, 0xb482, v106
	v_sub_f16_e32 v14, v14, v26
	v_mul_f16_e32 v26, 0x36a6, v15
	v_add_f16_sdwa v74, v25, v74 dst_sel:DWORD dst_unused:UNUSED_PAD src0_sel:WORD_1 src1_sel:DWORD
	v_add_f16_e32 v129, v25, v129
	v_add_f16_sdwa v130, v25, v130 dst_sel:DWORD dst_unused:UNUSED_PAD src0_sel:WORD_1 src1_sel:DWORD
	v_add_f16_e32 v131, v25, v131
	;; [unrolled: 2-line block ×8, first 2 shown]
	v_add_f16_sdwa v106, v25, v145 dst_sel:DWORD dst_unused:UNUSED_PAD src0_sel:WORD_1 src1_sel:DWORD
	v_fmamk_f16 v145, v29, 0x36a6, v127
	v_add_f16_e32 v104, v25, v104
	v_add_f16_sdwa v25, v25, v128 dst_sel:DWORD dst_unused:UNUSED_PAD src0_sel:WORD_1 src1_sel:DWORD
	v_fmamk_f16 v128, v14, 0x3b47, v26
	v_mul_f16_e32 v146, 0xba0c, v144
	v_fma_f16 v127, v29, 0x36a6, -v127
	v_add_f16_e32 v105, v145, v105
	v_fmac_f16_e32 v26, 0xbb47, v14
	v_add_f16_e32 v74, v128, v74
	v_fmamk_f16 v128, v29, 0xb93d, v146
	v_mul_f16_e32 v145, 0xb93d, v15
	v_add_f16_e32 v127, v127, v129
	v_mul_f16_e32 v129, 0x3482, v144
	v_add_f16_e32 v26, v26, v130
	v_add_f16_e32 v128, v128, v131
	v_fmamk_f16 v130, v14, 0x3a0c, v145
	v_fma_f16 v131, v29, 0xb93d, -v146
	v_fmac_f16_e32 v145, 0xba0c, v14
	v_fmamk_f16 v146, v29, 0xbbad, v129
	v_mul_f16_e32 v147, 0xbbad, v15
	v_add_f16_e32 v130, v130, v134
	v_add_f16_e32 v43, v131, v43
	;; [unrolled: 1-line block ×4, first 2 shown]
	v_fmamk_f16 v134, v14, 0xb482, v147
	v_mul_f16_e32 v136, 0x3beb, v144
	v_fma_f16 v129, v29, 0xbbad, -v129
	v_mul_f16_e32 v145, 0xb08e, v15
	v_mul_f16_e32 v144, 0x3853, v144
	v_add_f16_e32 v134, v134, v137
	v_fmamk_f16 v137, v29, 0xb08e, v136
	v_fma_f16 v136, v29, 0xb08e, -v136
	v_add_f16_e32 v129, v129, v133
	v_fmamk_f16 v133, v14, 0xbbeb, v145
	v_fmac_f16_e32 v145, 0x3beb, v14
	v_add_f16_e32 v137, v137, v140
	v_fmamk_f16 v140, v29, 0x3abb, v144
	v_add_f16_e32 v136, v136, v138
	v_sub_f16_e32 v138, v13, v7
	v_mul_f16_e32 v15, 0x3abb, v15
	v_add_f16_e32 v139, v145, v139
	v_add_f16_e32 v140, v140, v143
	;; [unrolled: 1-line block ×3, first 2 shown]
	v_mul_f16_e32 v145, 0xbbeb, v138
	v_add_f16_e32 v7, v13, v7
	v_fmac_f16_e32 v147, 0x3482, v14
	v_add_f16_e32 v133, v133, v141
	v_fmamk_f16 v141, v14, 0xb853, v15
	v_fma_f16 v13, v29, 0x3abb, -v144
	v_fmac_f16_e32 v15, 0x3853, v14
	v_sub_f16_e32 v11, v12, v11
	v_fmamk_f16 v12, v143, 0xb08e, v145
	v_mul_f16_e32 v14, 0xb08e, v7
	v_add_f16_e32 v29, v141, v106
	v_add_f16_e32 v13, v13, v104
	;; [unrolled: 1-line block ×4, first 2 shown]
	v_fmamk_f16 v25, v11, 0x3beb, v14
	v_mul_f16_e32 v104, 0x3482, v138
	v_fma_f16 v105, v143, 0xb08e, -v145
	v_fmac_f16_e32 v14, 0xbbeb, v11
	v_mul_f16_e32 v106, 0xbbad, v7
	v_add_f16_e32 v25, v25, v74
	v_fmamk_f16 v74, v143, 0xbbad, v104
	v_add_f16_e32 v105, v105, v127
	v_add_f16_e32 v14, v14, v26
	v_fmamk_f16 v26, v11, 0xb482, v106
	v_mul_f16_e32 v127, 0x3b47, v138
	v_fma_f16 v104, v143, 0xbbad, -v104
	v_fmac_f16_e32 v106, 0x3482, v11
	v_add_f16_e32 v74, v74, v128
	v_add_f16_e32 v26, v26, v130
	v_fmamk_f16 v128, v143, 0x36a6, v127
	v_mul_f16_e32 v130, 0x36a6, v7
	v_add_f16_e32 v43, v104, v43
	v_add_f16_e32 v104, v106, v131
	v_mul_f16_e32 v106, 0xb853, v138
	v_add_f16_e32 v135, v147, v135
	v_add_f16_e32 v128, v128, v132
	v_fmamk_f16 v131, v11, 0xbb47, v130
	v_fma_f16 v127, v143, 0x36a6, -v127
	v_fmac_f16_e32 v130, 0x3b47, v11
	v_fmamk_f16 v132, v143, 0x3abb, v106
	v_mul_f16_e32 v141, 0x3abb, v7
	v_mul_f16_e32 v7, 0xb93d, v7
	v_add_f16_e32 v131, v131, v134
	v_add_f16_e32 v127, v127, v129
	;; [unrolled: 1-line block ×4, first 2 shown]
	v_fmamk_f16 v132, v11, 0x3853, v141
	v_mul_f16_e32 v134, 0xba0c, v138
	v_fmamk_f16 v135, v11, 0x3a0c, v7
	v_sub_f16_e32 v137, v9, v6
	v_add_f16_e32 v6, v9, v6
	v_add_f16_e32 v132, v132, v133
	v_fmamk_f16 v133, v143, 0xb93d, v134
	v_add_f16_e32 v29, v135, v29
	v_add_f16_e32 v135, v8, v10
	v_mul_f16_e32 v9, 0xba0c, v137
	v_fma_f16 v134, v143, 0xb93d, -v134
	v_fmac_f16_e32 v7, 0xba0c, v11
	v_sub_f16_e32 v8, v8, v10
	v_mul_f16_e32 v10, 0xb93d, v6
	v_fmac_f16_e32 v141, 0xb853, v11
	v_fmamk_f16 v11, v135, 0xb93d, v9
	v_add_f16_e32 v13, v134, v13
	v_add_f16_e32 v7, v7, v15
	v_mul_f16_e32 v15, 0x3beb, v137
	v_fmamk_f16 v134, v8, 0x3a0c, v10
	v_add_f16_e32 v11, v11, v12
	v_fma_f16 v9, v135, 0xb93d, -v9
	v_fmac_f16_e32 v10, 0xba0c, v8
	v_fmamk_f16 v12, v135, 0xb08e, v15
	v_add_f16_e32 v25, v134, v25
	v_mul_f16_e32 v134, 0xb08e, v6
	v_add_f16_e32 v9, v9, v105
	v_add_f16_e32 v10, v10, v14
	v_add_f16_e32 v12, v12, v74
	v_mul_f16_e32 v14, 0xb853, v137
	v_fmamk_f16 v74, v8, 0xbbeb, v134
	v_mul_f16_e32 v105, 0x3abb, v6
	v_fma_f16 v15, v135, 0xb08e, -v15
	v_fmac_f16_e32 v134, 0x3beb, v8
	v_fmamk_f16 v138, v135, 0x3abb, v14
	v_add_f16_e32 v26, v74, v26
	v_fmamk_f16 v74, v8, 0x3853, v105
	v_add_f16_e32 v15, v15, v43
	v_add_f16_e32 v43, v134, v104
	;; [unrolled: 1-line block ×3, first 2 shown]
	v_mul_f16_e32 v128, 0xb482, v137
	v_fma_f16 v14, v135, 0x3abb, -v14
	v_fmac_f16_e32 v105, 0xb853, v8
	v_add_f16_e32 v74, v74, v131
	v_mul_f16_e32 v131, 0xbbad, v6
	v_fma_f16 v106, v143, 0x3abb, -v106
	v_fmamk_f16 v134, v135, 0xbbad, v128
	v_add_f16_e32 v14, v14, v127
	v_add_f16_e32 v105, v105, v129
	v_mul_f16_e32 v127, 0x3b47, v137
	v_fmamk_f16 v129, v8, 0x3482, v131
	v_add_f16_e32 v106, v106, v136
	v_add_f16_e32 v136, v141, v139
	;; [unrolled: 1-line block ×4, first 2 shown]
	v_fma_f16 v128, v135, 0xbbad, -v128
	v_fmac_f16_e32 v131, 0xb482, v8
	v_fmamk_f16 v134, v135, 0x36a6, v127
	v_add_f16_e32 v129, v129, v132
	v_mul_f16_e32 v6, 0x36a6, v6
	v_sub_f16_e32 v132, v4, v5
	v_add_f16_e32 v4, v4, v5
	v_add_f16_e32 v106, v128, v106
	;; [unrolled: 1-line block ×4, first 2 shown]
	v_fmamk_f16 v133, v8, 0xbb47, v6
	v_fma_f16 v127, v135, 0x36a6, -v127
	v_add_f16_e32 v5, v1, v3
	v_mul_f16_e32 v134, 0xb482, v132
	v_fmac_f16_e32 v6, 0x3b47, v8
	v_sub_f16_e32 v1, v1, v3
	v_mul_f16_e32 v3, 0xbbad, v4
	v_add_f16_e32 v8, v133, v29
	v_fmamk_f16 v29, v5, 0xbbad, v134
	v_add_f16_e32 v13, v127, v13
	v_add_f16_e32 v6, v6, v7
	v_fmamk_f16 v7, v1, 0x3482, v3
	v_mul_f16_e32 v127, 0x3853, v132
	v_fmac_f16_e32 v3, 0xb482, v1
	v_add_f16_e32 v11, v29, v11
	v_fma_f16 v29, v5, 0xbbad, -v134
	v_add_f16_e32 v7, v7, v25
	v_fmamk_f16 v25, v5, 0x3abb, v127
	v_mul_f16_e32 v133, 0x3abb, v4
	v_add_f16_e32 v3, v3, v10
	v_mul_f16_e32 v10, 0xba0c, v132
	v_add_f16_e32 v9, v29, v9
	v_add_f16_e32 v12, v25, v12
	v_fmamk_f16 v25, v1, 0xb853, v133
	v_fma_f16 v29, v5, 0x3abb, -v127
	v_fmac_f16_e32 v133, 0x3853, v1
	v_fmamk_f16 v127, v5, 0xb93d, v10
	v_mul_f16_e32 v134, 0xb93d, v4
	v_add_f16_e32 v25, v25, v26
	v_add_f16_e32 v15, v29, v15
	;; [unrolled: 1-line block ×4, first 2 shown]
	v_fmamk_f16 v43, v1, 0x3a0c, v134
	v_mul_f16_e32 v104, 0x3b47, v132
	v_add_f16_e32 v2, v2, v156
	v_fma_f16 v10, v5, 0xb93d, -v10
	v_fmac_f16_e32 v134, 0xba0c, v1
	v_mul_f16_e32 v127, 0x36a6, v4
	v_add_f16_e32 v43, v43, v74
	v_fmamk_f16 v74, v5, 0x36a6, v104
	v_add_f16_e32 v2, v2, v157
	v_add_f16_e32 v10, v10, v14
	;; [unrolled: 1-line block ×3, first 2 shown]
	v_fmamk_f16 v105, v1, 0xbb47, v127
	v_fma_f16 v104, v5, 0x36a6, -v104
	v_add_f16_e32 v74, v74, v130
	v_mul_f16_e32 v130, 0xbbeb, v132
	v_mul_f16_e32 v4, 0xb08e, v4
	v_add_f16_e32 v2, v2, v158
	v_add_f16_e32 v105, v105, v129
	v_add_f16_e32 v104, v104, v106
	v_fmamk_f16 v106, v5, 0xb08e, v130
	v_fmamk_f16 v129, v1, 0x3beb, v4
	v_fma_f16 v5, v5, 0xb08e, -v130
	v_fmac_f16_e32 v4, 0xbbeb, v1
	v_pack_b32_f16 v0, v0, v2
	v_pack_b32_f16 v2, v32, v34
	v_fmac_f16_e32 v127, 0x3b47, v1
	v_add_f16_e32 v5, v5, v13
	v_add_f16_e32 v4, v4, v6
	v_pack_b32_f16 v6, v35, v39
	v_pack_b32_f16 v13, v40, v41
	ds_write2_b32 v107, v0, v2 offset1:51
	ds_write2_b32 v107, v6, v13 offset0:102 offset1:153
	v_pack_b32_f16 v0, v46, v49
	v_pack_b32_f16 v2, v75, v76
	;; [unrolled: 1-line block ×10, first 2 shown]
	ds_write2_b32 v107, v0, v2 offset0:204 offset1:255
	ds_write2_b32 v92, v6, v13 offset0:50 offset1:101
	;; [unrolled: 1-line block ×5, first 2 shown]
	v_pack_b32_f16 v0, v93, v94
	v_pack_b32_f16 v2, v96, v98
	v_add_f16_e32 v106, v106, v131
	v_add_f16_e32 v8, v129, v8
	v_pack_b32_f16 v6, v100, v101
	v_pack_b32_f16 v13, v102, v103
	v_add_f16_e32 v1, v127, v128
	v_pack_b32_f16 v27, v97, v99
	v_pack_b32_f16 v28, v83, v95
	;; [unrolled: 1-line block ×6, first 2 shown]
	v_add_nc_u32_e32 v11, 0x1000, v142
	ds_write2_b32 v88, v0, v2 offset0:202 offset1:253
	ds_write2_b32 v87, v6, v13 offset0:48 offset1:99
	;; [unrolled: 1-line block ×5, first 2 shown]
	v_pack_b32_f16 v0, v12, v25
	v_pack_b32_f16 v2, v29, v43
	;; [unrolled: 1-line block ×4, first 2 shown]
	v_add_nc_u32_e32 v8, 0x1400, v142
	v_pack_b32_f16 v4, v5, v4
	v_pack_b32_f16 v1, v104, v1
	;; [unrolled: 1-line block ×4, first 2 shown]
	v_add_nc_u32_e32 v12, 0x1600, v142
	v_pack_b32_f16 v3, v9, v3
	ds_write2_b32 v11, v0, v2 offset0:200 offset1:251
	ds_write2_b32 v8, v6, v7 offset0:46 offset1:97
	;; [unrolled: 1-line block ×4, first 2 shown]
	ds_write_b32 v142, v3 offset:6528
	s_waitcnt lgkmcnt(0)
	s_barrier
	buffer_gl0_inv
	ds_read2_b32 v[2:3], v107 offset1:51
	ds_read2_b32 v[0:1], v89 offset0:126 offset1:177
	ds_read2_b32 v[27:28], v86 offset0:98 offset1:149
	;; [unrolled: 1-line block ×12, first 2 shown]
	ds_read_b32 v81, v107 offset:6528
	ds_read2_b32 v[6:7], v107 offset0:204 offset1:255
	ds_read2_b32 v[8:9], v92 offset0:50 offset1:101
	ds_read2_b32 v[10:11], v92 offset0:152 offset1:203
	s_waitcnt lgkmcnt(16)
	v_lshrrev_b32_e32 v12, 16, v2
	s_waitcnt lgkmcnt(15)
	v_lshrrev_b32_e32 v47, 16, v1
	s_waitcnt lgkmcnt(14)
	v_lshrrev_b32_e32 v48, 16, v27
	s_waitcnt lgkmcnt(13)
	v_lshrrev_b32_e32 v49, 16, v29
	v_lshrrev_b32_e32 v50, 16, v28
	v_mul_f16_sdwa v105, v57, v1 dst_sel:DWORD dst_unused:UNUSED_PAD src0_sel:WORD_1 src1_sel:DWORD
	v_mul_f16_sdwa v103, v57, v47 dst_sel:DWORD dst_unused:UNUSED_PAD src0_sel:WORD_1 src1_sel:DWORD
	;; [unrolled: 1-line block ×3, first 2 shown]
	v_lshrrev_b32_e32 v73, 16, v30
	s_waitcnt lgkmcnt(11)
	v_lshrrev_b32_e32 v74, 16, v31
	v_fma_f16 v47, v57, v47, -v105
	v_fmac_f16_e32 v103, v57, v1
	v_mul_f16_sdwa v1, v58, v27 dst_sel:DWORD dst_unused:UNUSED_PAD src0_sel:WORD_1 src1_sel:DWORD
	v_mul_f16_sdwa v57, v59, v49 dst_sel:DWORD dst_unused:UNUSED_PAD src0_sel:WORD_1 src1_sel:DWORD
	v_fmac_f16_e32 v127, v58, v27
	v_mul_f16_sdwa v27, v59, v29 dst_sel:DWORD dst_unused:UNUSED_PAD src0_sel:WORD_1 src1_sel:DWORD
	s_waitcnt lgkmcnt(10)
	v_lshrrev_b32_e32 v76, 16, v33
	v_fma_f16 v1, v58, v48, -v1
	v_mul_f16_sdwa v48, v60, v50 dst_sel:DWORD dst_unused:UNUSED_PAD src0_sel:WORD_1 src1_sel:DWORD
	v_fmac_f16_e32 v57, v59, v29
	v_mul_f16_sdwa v29, v60, v28 dst_sel:DWORD dst_unused:UNUSED_PAD src0_sel:WORD_1 src1_sel:DWORD
	v_fma_f16 v27, v59, v49, -v27
	v_mul_f16_sdwa v49, v53, v73 dst_sel:DWORD dst_unused:UNUSED_PAD src0_sel:WORD_1 src1_sel:DWORD
	v_fmac_f16_e32 v48, v60, v28
	v_mul_f16_sdwa v28, v53, v30 dst_sel:DWORD dst_unused:UNUSED_PAD src0_sel:WORD_1 src1_sel:DWORD
	v_lshrrev_b32_e32 v77, 16, v32
	v_fma_f16 v29, v60, v50, -v29
	v_mul_f16_sdwa v50, v54, v74 dst_sel:DWORD dst_unused:UNUSED_PAD src0_sel:WORD_1 src1_sel:DWORD
	v_fmac_f16_e32 v49, v53, v30
	v_mul_f16_sdwa v30, v54, v31 dst_sel:DWORD dst_unused:UNUSED_PAD src0_sel:WORD_1 src1_sel:DWORD
	v_fma_f16 v28, v53, v73, -v28
	v_mul_f16_sdwa v53, v51, v76 dst_sel:DWORD dst_unused:UNUSED_PAD src0_sel:WORD_1 src1_sel:DWORD
	v_lshrrev_b32_e32 v79, 16, v34
	s_waitcnt lgkmcnt(9)
	v_lshrrev_b32_e32 v80, 16, v35
	s_waitcnt lgkmcnt(8)
	v_lshrrev_b32_e32 v83, 16, v37
	v_lshrrev_b32_e32 v84, 16, v36
	;; [unrolled: 1-line block ×3, first 2 shown]
	v_fmac_f16_e32 v50, v54, v31
	v_mul_f16_sdwa v31, v51, v33 dst_sel:DWORD dst_unused:UNUSED_PAD src0_sel:WORD_1 src1_sel:DWORD
	v_fma_f16 v30, v54, v74, -v30
	v_mul_f16_sdwa v54, v52, v77 dst_sel:DWORD dst_unused:UNUSED_PAD src0_sel:WORD_1 src1_sel:DWORD
	v_fmac_f16_e32 v53, v51, v33
	v_mul_f16_sdwa v33, v52, v32 dst_sel:DWORD dst_unused:UNUSED_PAD src0_sel:WORD_1 src1_sel:DWORD
	s_waitcnt lgkmcnt(7)
	v_lshrrev_b32_e32 v95, 16, v39
	v_fma_f16 v31, v51, v76, -v31
	v_mul_f16_sdwa v51, v61, v79 dst_sel:DWORD dst_unused:UNUSED_PAD src0_sel:WORD_1 src1_sel:DWORD
	v_fmac_f16_e32 v54, v52, v32
	v_mul_f16_sdwa v32, v61, v34 dst_sel:DWORD dst_unused:UNUSED_PAD src0_sel:WORD_1 src1_sel:DWORD
	v_fma_f16 v33, v52, v77, -v33
	v_mul_f16_sdwa v52, v62, v80 dst_sel:DWORD dst_unused:UNUSED_PAD src0_sel:WORD_1 src1_sel:DWORD
	v_mul_f16_sdwa v58, v63, v83 dst_sel:DWORD dst_unused:UNUSED_PAD src0_sel:WORD_1 src1_sel:DWORD
	;; [unrolled: 1-line block ×4, first 2 shown]
	s_waitcnt lgkmcnt(6)
	v_lshrrev_b32_e32 v97, 16, v41
	v_lshrrev_b32_e32 v98, 16, v40
	v_fmac_f16_e32 v51, v61, v34
	v_mul_f16_sdwa v34, v62, v35 dst_sel:DWORD dst_unused:UNUSED_PAD src0_sel:WORD_1 src1_sel:DWORD
	v_fma_f16 v32, v61, v79, -v32
	v_fmac_f16_e32 v52, v62, v35
	v_mul_f16_sdwa v35, v63, v37 dst_sel:DWORD dst_unused:UNUSED_PAD src0_sel:WORD_1 src1_sel:DWORD
	v_fmac_f16_e32 v58, v63, v37
	v_mul_f16_sdwa v37, v64, v36 dst_sel:DWORD dst_unused:UNUSED_PAD src0_sel:WORD_1 src1_sel:DWORD
	;; [unrolled: 2-line block ×3, first 2 shown]
	v_mul_f16_sdwa v61, v56, v95 dst_sel:DWORD dst_unused:UNUSED_PAD src0_sel:WORD_1 src1_sel:DWORD
	v_fmac_f16_e32 v60, v55, v38
	v_mul_f16_sdwa v38, v56, v39 dst_sel:DWORD dst_unused:UNUSED_PAD src0_sel:WORD_1 src1_sel:DWORD
	v_lshrrev_b32_e32 v99, 16, v42
	v_fma_f16 v36, v55, v94, -v36
	v_mul_f16_sdwa v55, v71, v97 dst_sel:DWORD dst_unused:UNUSED_PAD src0_sel:WORD_1 src1_sel:DWORD
	v_fmac_f16_e32 v61, v56, v39
	v_fma_f16 v38, v56, v95, -v38
	v_mul_f16_sdwa v56, v72, v98 dst_sel:DWORD dst_unused:UNUSED_PAD src0_sel:WORD_1 src1_sel:DWORD
	s_waitcnt lgkmcnt(5)
	v_lshrrev_b32_e32 v100, 16, v43
	v_fma_f16 v34, v62, v80, -v34
	v_mul_f16_sdwa v62, v65, v99 dst_sel:DWORD dst_unused:UNUSED_PAD src0_sel:WORD_1 src1_sel:DWORD
	s_waitcnt lgkmcnt(4)
	v_lshrrev_b32_e32 v101, 16, v45
	v_lshrrev_b32_e32 v102, 16, v44
	v_mul_f16_sdwa v39, v71, v41 dst_sel:DWORD dst_unused:UNUSED_PAD src0_sel:WORD_1 src1_sel:DWORD
	v_fmac_f16_e32 v55, v71, v41
	v_mul_f16_sdwa v41, v72, v40 dst_sel:DWORD dst_unused:UNUSED_PAD src0_sel:WORD_1 src1_sel:DWORD
	v_fmac_f16_e32 v56, v72, v40
	v_mul_f16_sdwa v40, v65, v42 dst_sel:DWORD dst_unused:UNUSED_PAD src0_sel:WORD_1 src1_sel:DWORD
	v_lshrrev_b32_e32 v104, 16, v46
	v_fma_f16 v35, v63, v83, -v35
	v_mul_f16_sdwa v63, v66, v100 dst_sel:DWORD dst_unused:UNUSED_PAD src0_sel:WORD_1 src1_sel:DWORD
	v_fmac_f16_e32 v62, v65, v42
	v_mul_f16_sdwa v42, v66, v43 dst_sel:DWORD dst_unused:UNUSED_PAD src0_sel:WORD_1 src1_sel:DWORD
	v_fma_f16 v37, v64, v84, -v37
	v_fma_f16 v40, v65, v99, -v40
	v_mul_f16_sdwa v64, v69, v101 dst_sel:DWORD dst_unused:UNUSED_PAD src0_sel:WORD_1 src1_sel:DWORD
	v_mul_f16_sdwa v65, v70, v102 dst_sel:DWORD dst_unused:UNUSED_PAD src0_sel:WORD_1 src1_sel:DWORD
	s_waitcnt lgkmcnt(3)
	v_lshrrev_b32_e32 v106, 16, v81
	v_fmac_f16_e32 v63, v66, v43
	v_mul_f16_sdwa v43, v69, v45 dst_sel:DWORD dst_unused:UNUSED_PAD src0_sel:WORD_1 src1_sel:DWORD
	v_fma_f16 v42, v66, v100, -v42
	v_mul_f16_sdwa v66, v67, v104 dst_sel:DWORD dst_unused:UNUSED_PAD src0_sel:WORD_1 src1_sel:DWORD
	v_fmac_f16_e32 v64, v69, v45
	v_mul_f16_sdwa v45, v70, v44 dst_sel:DWORD dst_unused:UNUSED_PAD src0_sel:WORD_1 src1_sel:DWORD
	v_fmac_f16_e32 v65, v70, v44
	v_mul_f16_sdwa v44, v67, v46 dst_sel:DWORD dst_unused:UNUSED_PAD src0_sel:WORD_1 src1_sel:DWORD
	v_fma_f16 v43, v69, v101, -v43
	v_mul_f16_sdwa v69, v68, v106 dst_sel:DWORD dst_unused:UNUSED_PAD src0_sel:WORD_1 src1_sel:DWORD
	v_fmac_f16_e32 v66, v67, v46
	v_mul_f16_sdwa v46, v68, v81 dst_sel:DWORD dst_unused:UNUSED_PAD src0_sel:WORD_1 src1_sel:DWORD
	v_fma_f16 v44, v67, v104, -v44
	v_add_f16_e32 v67, v103, v127
	v_fmac_f16_e32 v69, v68, v81
	v_fma_f16 v45, v70, v102, -v45
	v_fma_f16 v46, v68, v106, -v46
	v_add_f16_e32 v68, v47, v1
	v_add_f16_e32 v70, v2, v103
	v_fma_f16 v2, -0.5, v67, v2
	v_sub_f16_e32 v67, v47, v1
	v_add_f16_e32 v47, v12, v47
	v_fmac_f16_e32 v12, -0.5, v68
	v_sub_f16_e32 v68, v103, v127
	v_lshrrev_b32_e32 v13, 16, v3
	v_fma_f16 v39, v71, v97, -v39
	v_add_f16_e32 v1, v47, v1
	v_add_f16_e32 v47, v57, v48
	v_fma_f16 v41, v72, v98, -v41
	v_fmamk_f16 v71, v67, 0xbaee, v2
	v_fmac_f16_e32 v2, 0x3aee, v67
	v_fmamk_f16 v67, v68, 0x3aee, v12
	v_add_f16_e32 v72, v3, v57
	v_fmac_f16_e32 v12, 0xbaee, v68
	v_add_f16_e32 v68, v27, v29
	v_fmac_f16_e32 v3, -0.5, v47
	v_sub_f16_e32 v47, v27, v29
	v_add_f16_e32 v27, v13, v27
	v_add_f16_e32 v72, v72, v48
	v_fmac_f16_e32 v13, -0.5, v68
	v_sub_f16_e32 v48, v57, v48
	v_lshrrev_b32_e32 v14, 16, v4
	v_add_f16_e32 v27, v27, v29
	v_add_f16_e32 v29, v49, v50
	v_fmamk_f16 v57, v47, 0xbaee, v3
	v_fmac_f16_e32 v3, 0x3aee, v47
	v_fmamk_f16 v47, v48, 0x3aee, v13
	v_fmac_f16_e32 v13, 0xbaee, v48
	v_add_f16_e32 v48, v28, v30
	v_add_f16_e32 v68, v4, v49
	v_fma_f16 v4, -0.5, v29, v4
	v_sub_f16_e32 v29, v28, v30
	v_add_f16_e32 v28, v14, v28
	v_fmac_f16_e32 v14, -0.5, v48
	v_sub_f16_e32 v48, v49, v50
	v_lshrrev_b32_e32 v75, 16, v5
	v_fmamk_f16 v49, v29, 0xbaee, v4
	v_fmac_f16_e32 v4, 0x3aee, v29
	v_add_f16_e32 v29, v53, v54
	v_add_f16_e32 v28, v28, v30
	v_fmamk_f16 v30, v48, 0x3aee, v14
	v_fmac_f16_e32 v14, 0xbaee, v48
	v_add_f16_e32 v48, v31, v33
	v_add_f16_e32 v68, v68, v50
	v_add_f16_e32 v50, v5, v53
	v_fmac_f16_e32 v5, -0.5, v29
	v_sub_f16_e32 v29, v31, v33
	v_add_f16_e32 v31, v75, v31
	v_fmac_f16_e32 v75, -0.5, v48
	v_sub_f16_e32 v48, v53, v54
	s_waitcnt lgkmcnt(2)
	v_lshrrev_b32_e32 v78, 16, v6
	v_fmamk_f16 v53, v29, 0xbaee, v5
	v_fmac_f16_e32 v5, 0x3aee, v29
	v_add_f16_e32 v29, v31, v33
	v_add_f16_e32 v31, v51, v52
	v_fmamk_f16 v33, v48, 0x3aee, v75
	v_fmac_f16_e32 v75, 0xbaee, v48
	v_add_f16_e32 v48, v32, v34
	v_add_f16_e32 v50, v50, v54
	v_add_f16_e32 v54, v6, v51
	v_fma_f16 v6, -0.5, v31, v6
	v_sub_f16_e32 v31, v32, v34
	v_add_f16_e32 v32, v78, v32
	v_fmac_f16_e32 v78, -0.5, v48
	v_sub_f16_e32 v48, v51, v52
	v_lshrrev_b32_e32 v82, 16, v7
	v_fmamk_f16 v51, v31, 0xbaee, v6
	v_fmac_f16_e32 v6, 0x3aee, v31
	v_add_f16_e32 v31, v32, v34
	v_add_f16_e32 v32, v58, v59
	v_fmamk_f16 v34, v48, 0x3aee, v78
	v_fmac_f16_e32 v78, 0xbaee, v48
	v_add_f16_e32 v48, v35, v37
	v_add_f16_e32 v54, v54, v52
	v_add_f16_e32 v52, v7, v58
	v_fmac_f16_e32 v7, -0.5, v32
	v_sub_f16_e32 v32, v35, v37
	v_add_f16_e32 v35, v82, v35
	v_fmac_f16_e32 v82, -0.5, v48
	v_sub_f16_e32 v48, v58, v59
	s_waitcnt lgkmcnt(1)
	v_lshrrev_b32_e32 v93, 16, v8
	v_fmamk_f16 v58, v32, 0xbaee, v7
	v_fmac_f16_e32 v7, 0x3aee, v32
	v_add_f16_e32 v32, v35, v37
	v_add_f16_e32 v35, v60, v61
	v_fmamk_f16 v37, v48, 0x3aee, v82
	v_fmac_f16_e32 v82, 0xbaee, v48
	v_add_f16_e32 v48, v36, v38
	;; [unrolled: 31-line block ×3, first 2 shown]
	v_add_f16_e32 v61, v61, v56
	v_add_f16_e32 v56, v10, v62
	v_fma_f16 v10, -0.5, v39, v10
	v_sub_f16_e32 v39, v40, v42
	v_add_f16_e32 v40, v26, v40
	v_fmac_f16_e32 v26, -0.5, v48
	v_sub_f16_e32 v48, v62, v63
	v_lshrrev_b32_e32 v25, 16, v11
	v_fmamk_f16 v62, v39, 0xbaee, v10
	v_fmac_f16_e32 v10, 0x3aee, v39
	v_add_f16_e32 v39, v40, v42
	v_add_f16_e32 v40, v64, v65
	v_fmamk_f16 v42, v48, 0x3aee, v26
	v_fmac_f16_e32 v26, 0xbaee, v48
	v_add_f16_e32 v48, v43, v45
	v_add_f16_e32 v70, v70, v127
	;; [unrolled: 1-line block ×4, first 2 shown]
	v_fmac_f16_e32 v11, -0.5, v40
	v_sub_f16_e32 v40, v43, v45
	v_add_f16_e32 v43, v25, v43
	v_fmac_f16_e32 v25, -0.5, v48
	v_sub_f16_e32 v48, v64, v65
	v_pack_b32_f16 v1, v70, v1
	v_pack_b32_f16 v2, v2, v12
	;; [unrolled: 1-line block ×4, first 2 shown]
	v_lshrrev_b32_e32 v15, 16, v0
	v_fmamk_f16 v64, v40, 0xbaee, v11
	v_fmac_f16_e32 v11, 0x3aee, v40
	v_add_f16_e32 v40, v43, v45
	v_add_f16_e32 v43, v66, v69
	v_pack_b32_f16 v27, v57, v47
	v_pack_b32_f16 v13, v49, v30
	v_fmamk_f16 v45, v48, 0x3aee, v25
	v_fmac_f16_e32 v25, 0xbaee, v48
	v_add_f16_e32 v48, v44, v46
	v_pack_b32_f16 v28, v68, v28
	v_pack_b32_f16 v29, v50, v29
	ds_write2_b32 v107, v1, v12 offset1:51
	ds_write2_b32 v86, v2, v3 offset0:98 offset1:149
	ds_write2_b32 v88, v27, v13 offset0:100 offset1:151
	v_pack_b32_f16 v1, v4, v14
	v_pack_b32_f16 v3, v5, v75
	;; [unrolled: 1-line block ×4, first 2 shown]
	v_add_f16_e32 v63, v63, v65
	v_add_f16_e32 v65, v0, v66
	v_fmac_f16_e32 v0, -0.5, v43
	v_sub_f16_e32 v43, v44, v46
	v_add_f16_e32 v44, v15, v44
	v_pack_b32_f16 v4, v54, v31
	v_pack_b32_f16 v12, v52, v32
	;; [unrolled: 1-line block ×4, first 2 shown]
	v_fmac_f16_e32 v15, -0.5, v48
	v_sub_f16_e32 v48, v66, v69
	ds_write2_b32 v107, v28, v29 offset0:102 offset1:153
	ds_write2_b32 v86, v1, v3 offset0:200 offset1:251
	;; [unrolled: 1-line block ×4, first 2 shown]
	v_pack_b32_f16 v1, v58, v37
	v_pack_b32_f16 v3, v60, v38
	;; [unrolled: 1-line block ×4, first 2 shown]
	v_add_f16_e32 v65, v65, v69
	v_fmamk_f16 v66, v43, 0xbaee, v0
	v_fmac_f16_e32 v0, 0x3aee, v43
	v_add_f16_e32 v43, v44, v46
	ds_write2_b32 v90, v6, v7 offset0:46 offset1:97
	v_pack_b32_f16 v4, v8, v93
	v_pack_b32_f16 v6, v9, v96
	v_fmamk_f16 v44, v48, 0x3aee, v15
	v_pack_b32_f16 v7, v55, v41
	v_pack_b32_f16 v8, v62, v42
	v_fmac_f16_e32 v15, 0xbaee, v48
	ds_write2_b32 v87, v1, v3 offset0:48 offset1:99
	ds_write2_b32 v92, v2, v5 offset0:50 offset1:101
	ds_write2_b32 v90, v4, v6 offset0:148 offset1:199
	v_pack_b32_f16 v1, v56, v39
	v_pack_b32_f16 v3, v63, v40
	;; [unrolled: 1-line block ×6, first 2 shown]
	ds_write2_b32 v87, v7, v8 offset0:150 offset1:201
	v_pack_b32_f16 v4, v64, v45
	v_pack_b32_f16 v7, v66, v44
	;; [unrolled: 1-line block ×3, first 2 shown]
	ds_write2_b32 v92, v1, v3 offset0:152 offset1:203
	ds_write2_b32 v85, v2, v5 offset0:122 offset1:173
	;; [unrolled: 1-line block ×4, first 2 shown]
	ds_write_b32 v107, v0 offset:6528
	s_waitcnt lgkmcnt(0)
	s_barrier
	buffer_gl0_inv
	ds_read2_b32 v[0:1], v107 offset1:99
	s_waitcnt lgkmcnt(0)
	v_lshrrev_b32_e32 v2, 16, v0
	v_lshrrev_b32_e32 v12, 16, v1
	v_mul_f16_sdwa v3, v126, v2 dst_sel:DWORD dst_unused:UNUSED_PAD src0_sel:WORD_1 src1_sel:DWORD
	v_mul_f16_sdwa v13, v125, v12 dst_sel:DWORD dst_unused:UNUSED_PAD src0_sel:WORD_1 src1_sel:DWORD
	v_fmac_f16_e32 v3, v126, v0
	v_mul_f16_sdwa v0, v126, v0 dst_sel:DWORD dst_unused:UNUSED_PAD src0_sel:WORD_1 src1_sel:DWORD
	v_fmac_f16_e32 v13, v125, v1
	v_cvt_f32_f16_e32 v3, v3
	v_fma_f16 v0, v126, v2, -v0
	v_cvt_f64_f32_e32 v[2:3], v3
	v_cvt_f32_f16_e32 v0, v0
	v_cvt_f64_f32_e32 v[4:5], v0
	v_mul_f64 v[2:3], v[2:3], s[4:5]
	v_mul_f64 v[4:5], v[4:5], s[4:5]
	v_and_or_b32 v0, 0x1ff, v3, v2
	v_lshrrev_b32_e32 v2, 8, v3
	v_bfe_u32 v6, v3, 20, 11
	v_cmp_ne_u32_e64 s0, 0, v0
	v_and_or_b32 v4, 0x1ff, v5, v4
	v_lshrrev_b32_e32 v7, 8, v5
	v_bfe_u32 v10, v5, 20, 11
	v_add_nc_u32_e32 v15, 0xfffffc10, v6
	v_cndmask_b32_e64 v0, 0, 1, s0
	v_cmp_ne_u32_e64 s0, 0, v4
	v_lshrrev_b32_e32 v5, 16, v5
	v_add_nc_u32_e32 v26, 0xfffffc10, v10
	v_cmp_gt_i32_e64 s2, 31, v15
	v_and_or_b32 v2, 0xffe, v2, v0
	v_sub_nc_u32_e32 v0, 0x3f1, v6
	v_cndmask_b32_e64 v4, 0, 1, s0
	v_or_b32_e32 v8, 0x1000, v2
	v_med3_i32 v0, v0, 0, 13
	v_and_or_b32 v4, 0xffe, v7, v4
	v_sub_nc_u32_e32 v7, 0x3f1, v10
	v_lshl_or_b32 v25, v15, 12, v2
	v_lshrrev_b32_e32 v9, v0, v8
	v_or_b32_e32 v11, 0x1000, v4
	v_med3_i32 v7, v7, 0, 13
	v_lshlrev_b32_e32 v0, v0, v9
	v_lshrrev_b32_e32 v14, v7, v11
	v_cmp_ne_u32_e64 s0, v0, v8
	v_cvt_f32_f16_e32 v8, v13
	v_lshlrev_b32_e32 v13, v7, v14
	v_mad_u64_u32 v[6:7], null, s10, v24, 0
	v_cndmask_b32_e64 v0, 0, 1, s0
	s_mul_i32 s10, s8, 0x63
	v_cmp_ne_u32_e64 s0, v13, v11
	v_or_b32_e32 v0, v9, v0
	v_cvt_f64_f32_e32 v[8:9], v8
	v_cndmask_b32_e64 v11, 0, 1, s0
	v_cmp_gt_i32_e64 s0, 1, v15
	v_cndmask_b32_e64 v13, v25, v0, s0
	v_mov_b32_e32 v0, v7
	v_or_b32_e32 v7, v14, v11
	v_lshl_or_b32 v14, v26, 12, v4
	v_cmp_gt_i32_e64 s0, 1, v26
	v_and_b32_e32 v25, 7, v13
	v_mad_u64_u32 v[10:11], null, s11, v24, v[0:1]
	v_mul_f16_sdwa v0, v125, v1 dst_sel:DWORD dst_unused:UNUSED_PAD src0_sel:WORD_1 src1_sel:DWORD
	v_cndmask_b32_e64 v7, v14, v7, s0
	v_cmp_lt_i32_e64 s0, 5, v25
	v_cmp_eq_u32_e64 s1, 3, v25
	v_lshrrev_b32_e32 v11, 2, v13
	v_fma_f16 v12, v125, v12, -v0
	v_and_b32_e32 v13, 7, v7
	v_mul_f64 v[0:1], v[8:9], s[4:5]
	s_or_b32 s0, s1, s0
	v_lshrrev_b32_e32 v24, 16, v3
	v_add_co_ci_u32_e64 v9, s0, 0, v11, s0
	v_cmp_ne_u32_e64 s0, 0, v2
	v_cmp_eq_u32_e64 s1, 3, v13
	v_lshrrev_b32_e32 v11, 2, v7
	v_cvt_f32_f16_e32 v8, v12
	v_cndmask_b32_e64 v9, 0x7c00, v9, s2
	v_cndmask_b32_e64 v2, 0, 1, s0
	v_cmp_lt_i32_e64 s0, 5, v13
	v_cvt_f64_f32_e32 v[7:8], v8
	v_lshl_or_b32 v2, v2, 9, 0x7c00
	s_or_b32 s0, s1, s0
	v_add_co_ci_u32_e64 v11, s0, 0, v11, s0
	v_cmp_eq_u32_e64 s0, 0x40f, v15
	v_and_or_b32 v0, 0x1ff, v1, v0
	v_lshrrev_b32_e32 v25, 8, v1
	v_bfe_u32 v27, v1, 20, 11
	v_cndmask_b32_e64 v15, v9, v2, s0
	v_cmp_gt_i32_e64 s0, 31, v26
	v_cndmask_b32_e64 v2, 0x7c00, v11, s0
	v_cmp_ne_u32_e64 s0, 0, v4
	v_mad_u64_u32 v[11:12], null, s8, v124, 0
	v_mul_f64 v[8:9], v[7:8], s[4:5]
	v_add_nc_u32_e32 v4, 0x200, v107
	v_cndmask_b32_e64 v3, 0, 1, s0
	v_cmp_ne_u32_e64 s0, 0, v0
	v_sub_nc_u32_e32 v7, 0x3f1, v27
	ds_read2_b32 v[13:14], v4 offset0:70 offset1:169
	v_lshl_or_b32 v3, v3, 9, 0x7c00
	v_cndmask_b32_e64 v0, 0, 1, s0
	v_cmp_eq_u32_e64 s0, 0x40f, v26
	v_and_or_b32 v25, 0xffe, v25, v0
	v_mov_b32_e32 v0, v12
	v_med3_i32 v12, v7, 0, 13
	v_cndmask_b32_e64 v26, v2, v3, s0
	v_mov_b32_e32 v7, v10
	v_or_b32_e32 v28, 0x1000, v25
	v_mad_u64_u32 v[2:3], null, s9, v124, v[0:1]
	v_and_or_b32 v10, 0x8000, v5, v26
	v_and_or_b32 v3, 0x8000, v24, v15
	v_lshrrev_b32_e32 v0, v12, v28
	v_add_nc_u32_e32 v26, 0xfffffc10, v27
	v_bfe_u32 v27, v9, 20, 11
	s_waitcnt lgkmcnt(0)
	v_lshrrev_b32_e32 v24, 16, v13
	v_and_b32_e32 v15, 0xffff, v3
	v_lshlrev_b32_e32 v5, v12, v0
	v_mov_b32_e32 v12, v2
	v_and_or_b32 v2, 0x1ff, v9, v8
	v_lshrrev_b32_e32 v8, 8, v9
	v_lshl_or_b32 v15, v10, 16, v15
	v_cmp_ne_u32_e64 s0, v5, v28
	v_mul_f16_sdwa v5, v123, v24 dst_sel:DWORD dst_unused:UNUSED_PAD src0_sel:WORD_1 src1_sel:DWORD
	v_lshrrev_b32_e32 v9, 16, v9
	v_cndmask_b32_e64 v3, 0, 1, s0
	v_cmp_ne_u32_e64 s0, 0, v2
	v_fmac_f16_e32 v5, v123, v13
	v_or_b32_e32 v0, v0, v3
	v_cndmask_b32_e64 v2, 0, 1, s0
	v_lshl_or_b32 v3, v26, 12, v25
	v_cmp_gt_i32_e64 s0, 1, v26
	v_cvt_f32_f16_e32 v5, v5
	v_and_or_b32 v28, 0xffe, v8, v2
	v_sub_nc_u32_e32 v2, 0x3f1, v27
	v_cndmask_b32_e64 v0, v3, v0, s0
	v_or_b32_e32 v8, 0x1000, v28
	v_med3_i32 v29, v2, 0, 13
	v_lshlrev_b64 v[2:3], 2, v[6:7]
	v_cvt_f64_f32_e32 v[5:6], v5
	v_and_b32_e32 v7, 7, v0
	v_lshrrev_b32_e32 v0, 2, v0
	v_lshrrev_b32_e32 v10, v29, v8
	v_add_co_u32 v2, s0, s14, v2
	v_add_co_ci_u32_e64 v3, s0, s15, v3, s0
	v_lshlrev_b32_e32 v29, v29, v10
	v_cmp_lt_i32_e64 s0, 5, v7
	v_cmp_eq_u32_e64 s1, 3, v7
	v_mul_f16_sdwa v7, v123, v13 dst_sel:DWORD dst_unused:UNUSED_PAD src0_sel:WORD_1 src1_sel:DWORD
	v_add_nc_u32_e32 v13, 0xfffffc10, v27
	v_cmp_ne_u32_e64 s2, v29, v8
	s_or_b32 s0, s1, s0
	v_fma_f16 v7, v123, v24, -v7
	v_add_co_ci_u32_e64 v0, s0, 0, v0, s0
	v_cndmask_b32_e64 v8, 0, 1, s2
	v_cmp_ne_u32_e64 s0, 0, v25
	v_cvt_f32_f16_e32 v7, v7
	v_mul_f64 v[5:6], v[5:6], s[4:5]
	v_cmp_eq_u32_e64 s2, 0x40f, v26
	v_or_b32_e32 v8, v10, v8
	v_lshl_or_b32 v10, v13, 12, v28
	v_cndmask_b32_e64 v24, 0, 1, s0
	v_cmp_gt_i32_e64 s0, 1, v13
	v_cndmask_b32_e64 v25, v10, v8, s0
	v_cvt_f64_f32_e32 v[7:8], v7
	v_lshlrev_b64 v[10:11], 2, v[11:12]
	v_cmp_gt_i32_e64 s0, 31, v26
	v_lshl_or_b32 v12, v24, 9, 0x7c00
	v_and_b32_e32 v24, 7, v25
	v_cndmask_b32_e64 v0, 0x7c00, v0, s0
	v_add_co_u32 v10, s0, v2, v10
	v_add_co_ci_u32_e64 v11, s0, v3, v11, s0
	v_cmp_lt_i32_e64 s0, 5, v24
	v_cmp_eq_u32_e64 s1, 3, v24
	v_cndmask_b32_e64 v12, v0, v12, s2
	v_lshrrev_b32_e32 v0, 2, v25
	v_and_or_b32 v5, 0x1ff, v6, v5
	v_lshrrev_b32_e32 v24, 16, v1
	s_or_b32 s0, s1, s0
	v_bfe_u32 v27, v6, 20, 11
	v_add_co_ci_u32_e64 v25, s0, 0, v0, s0
	v_cmp_ne_u32_e64 s0, 0, v28
	v_mul_f64 v[0:1], v[7:8], s[4:5]
	v_lshrrev_b32_e32 v7, 8, v6
	global_store_dword v[10:11], v15, off
	v_and_or_b32 v12, 0x8000, v24, v12
	v_cndmask_b32_e64 v26, 0, 1, s0
	v_cmp_ne_u32_e64 s0, 0, v5
	s_mul_i32 s1, s9, 0x63
	s_mul_hi_u32 s2, s8, 0x63
	v_and_b32_e32 v12, 0xffff, v12
	s_add_i32 s11, s2, s1
	v_cndmask_b32_e64 v5, 0, 1, s0
	v_cmp_gt_i32_e64 s0, 31, v13
	s_lshl_b64 s[10:11], s[10:11], 2
	v_and_or_b32 v5, 0xffe, v7, v5
	v_cndmask_b32_e64 v8, 0x7c00, v25, s0
	v_lshl_or_b32 v25, v26, 9, 0x7c00
	v_lshrrev_b32_e32 v26, 16, v14
	v_sub_nc_u32_e32 v7, 0x3f1, v27
	v_cmp_eq_u32_e64 s0, 0x40f, v13
	v_and_or_b32 v0, 0x1ff, v1, v0
	v_mul_f16_sdwa v13, v122, v26 dst_sel:DWORD dst_unused:UNUSED_PAD src0_sel:WORD_1 src1_sel:DWORD
	v_med3_i32 v7, v7, 0, 13
	v_cndmask_b32_e64 v8, v8, v25, s0
	v_or_b32_e32 v25, 0x1000, v5
	v_cmp_ne_u32_e64 s0, 0, v0
	v_fmac_f16_e32 v13, v122, v14
	v_lshrrev_b32_e32 v24, 8, v1
	v_and_or_b32 v9, 0x8000, v9, v8
	v_lshrrev_b32_e32 v15, v7, v25
	v_cndmask_b32_e64 v0, 0, 1, s0
	v_cvt_f32_f16_e32 v8, v13
	v_bfe_u32 v28, v1, 20, 11
	v_mul_f16_sdwa v14, v122, v14 dst_sel:DWORD dst_unused:UNUSED_PAD src0_sel:WORD_1 src1_sel:DWORD
	v_lshlrev_b32_e32 v13, v7, v15
	v_and_or_b32 v0, 0xffe, v24, v0
	v_cvt_f64_f32_e32 v[7:8], v8
	v_sub_nc_u32_e32 v24, 0x3f1, v28
	v_fma_f16 v14, v122, v26, -v14
	v_cmp_ne_u32_e64 s0, v13, v25
	v_add_nc_u32_e32 v25, 0xfffffc10, v27
	v_or_b32_e32 v27, 0x1000, v0
	v_med3_i32 v24, v24, 0, 13
	v_lshl_or_b32 v29, v9, 16, v12
	v_cndmask_b32_e64 v13, 0, 1, s0
	v_cmp_gt_i32_e64 s0, 1, v25
	v_cvt_f32_f16_e32 v9, v14
	v_lshrrev_b32_e32 v1, 16, v1
	v_or_b32_e32 v13, v15, v13
	v_lshl_or_b32 v15, v25, 12, v5
	v_cndmask_b32_e64 v13, v15, v13, s0
	v_lshrrev_b32_e32 v15, v24, v27
	v_mul_f64 v[7:8], v[7:8], s[4:5]
	v_and_b32_e32 v26, 7, v13
	v_lshlrev_b32_e32 v14, v24, v15
	v_lshrrev_b32_e32 v24, 2, v13
	v_cvt_f64_f32_e32 v[12:13], v9
	v_cmp_lt_i32_e64 s0, 5, v26
	v_cmp_eq_u32_e64 s1, 3, v26
	v_cmp_ne_u32_e64 s2, v14, v27
	v_add_nc_u32_e32 v26, 0xfffffc10, v28
	s_or_b32 s0, s1, s0
	v_cndmask_b32_e64 v9, 0, 1, s2
	v_add_co_ci_u32_e64 v24, s0, 0, v24, s0
	v_cmp_ne_u32_e64 s0, 0, v5
	v_lshl_or_b32 v27, v26, 12, v0
	v_or_b32_e32 v9, v15, v9
	ds_read2_b32 v[14:15], v92 offset0:140 offset1:239
	v_cndmask_b32_e64 v5, 0, 1, s0
	v_cmp_gt_i32_e64 s0, 31, v25
	v_and_or_b32 v7, 0x1ff, v8, v7
	v_bfe_u32 v28, v8, 20, 11
	v_lshl_or_b32 v5, v5, 9, 0x7c00
	v_cndmask_b32_e64 v24, 0x7c00, v24, s0
	v_cmp_gt_i32_e64 s0, 1, v26
	v_cndmask_b32_e64 v9, v27, v9, s0
	v_cmp_eq_u32_e64 s0, 0x40f, v25
	v_lshrrev_b32_e32 v25, 16, v6
	v_and_b32_e32 v27, 7, v9
	v_cndmask_b32_e64 v24, v24, v5, s0
	v_mul_f64 v[5:6], v[12:13], s[4:5]
	v_cmp_ne_u32_e64 s0, 0, v7
	v_lshrrev_b32_e32 v12, 8, v8
	v_cmp_eq_u32_e64 s1, 3, v27
	v_lshrrev_b32_e32 v9, 2, v9
	v_and_or_b32 v24, 0x8000, v25, v24
	v_cndmask_b32_e64 v7, 0, 1, s0
	v_cmp_lt_i32_e64 s0, 5, v27
	s_waitcnt lgkmcnt(0)
	v_lshrrev_b32_e32 v27, 16, v14
	v_and_b32_e32 v24, 0xffff, v24
	v_and_or_b32 v7, 0xffe, v12, v7
	s_or_b32 s0, s1, s0
	v_sub_nc_u32_e32 v12, 0x3f1, v28
	v_add_co_ci_u32_e64 v9, s0, 0, v9, s0
	v_cmp_gt_i32_e64 s0, 31, v26
	v_or_b32_e32 v30, 0x1000, v7
	v_med3_i32 v12, v12, 0, 13
	v_mul_f16_sdwa v13, v121, v27 dst_sel:DWORD dst_unused:UNUSED_PAD src0_sel:WORD_1 src1_sel:DWORD
	v_add_nc_u32_e32 v28, 0xfffffc10, v28
	v_cndmask_b32_e64 v9, 0x7c00, v9, s0
	v_and_or_b32 v5, 0x1ff, v6, v5
	v_cmp_ne_u32_e64 s0, 0, v0
	v_lshrrev_b32_e32 v25, v12, v30
	v_fmac_f16_e32 v13, v121, v14
	v_lshrrev_b32_e32 v32, 8, v6
	v_bfe_u32 v33, v6, 20, 11
	v_cndmask_b32_e64 v0, 0, 1, s0
	v_cmp_ne_u32_e64 s0, 0, v5
	v_lshlrev_b32_e32 v31, v12, v25
	v_cvt_f32_f16_e32 v12, v13
	v_lshrrev_b32_e32 v6, 16, v6
	v_lshl_or_b32 v0, v0, 9, 0x7c00
	v_cndmask_b32_e64 v5, 0, 1, s0
	v_cmp_ne_u32_e64 s0, v31, v30
	v_cvt_f64_f32_e32 v[12:13], v12
	v_sub_nc_u32_e32 v31, 0x3f1, v33
	v_and_or_b32 v5, 0xffe, v32, v5
	v_cndmask_b32_e64 v30, 0, 1, s0
	v_cmp_eq_u32_e64 s0, 0x40f, v26
	v_med3_i32 v31, v31, 0, 13
	v_or_b32_e32 v32, 0x1000, v5
	v_or_b32_e32 v25, v25, v30
	v_lshl_or_b32 v30, v28, 12, v7
	v_cndmask_b32_e64 v0, v9, v0, s0
	v_cmp_gt_i32_e64 s0, 1, v28
	v_lshrrev_b32_e32 v26, v31, v32
	v_cndmask_b32_e64 v25, v30, v25, s0
	v_lshlrev_b32_e32 v31, v31, v26
	v_and_or_b32 v30, 0x8000, v1, v0
	v_add_co_u32 v9, s0, v10, s10
	v_and_b32_e32 v34, 7, v25
	v_mul_f64 v[0:1], v[12:13], s[4:5]
	v_mul_f16_sdwa v12, v121, v14 dst_sel:DWORD dst_unused:UNUSED_PAD src0_sel:WORD_1 src1_sel:DWORD
	v_cmp_ne_u32_e64 s1, v31, v32
	v_add_co_ci_u32_e64 v10, s0, s11, v11, s0
	v_cmp_lt_i32_e64 s0, 5, v34
	v_fma_f16 v11, v121, v27, -v12
	v_cndmask_b32_e64 v12, 0, 1, s1
	v_cmp_eq_u32_e64 s1, 3, v34
	v_lshrrev_b32_e32 v13, 2, v25
	v_add_nc_u32_e32 v27, 0xfffffc10, v33
	v_cvt_f32_f16_e32 v11, v11
	v_or_b32_e32 v14, v26, v12
	s_or_b32 s0, s1, s0
	v_lshl_or_b32 v24, v30, 16, v24
	v_add_co_ci_u32_e64 v13, s0, 0, v13, s0
	v_cmp_ne_u32_e64 s0, 0, v7
	v_lshl_or_b32 v25, v27, 12, v5
	v_cvt_f64_f32_e32 v[11:12], v11
	v_lshrrev_b32_e32 v33, 16, v15
	global_store_dword v[9:10], v29, off
	v_cndmask_b32_e64 v7, 0, 1, s0
	v_cmp_gt_i32_e64 s0, 1, v27
	v_and_or_b32 v0, 0x1ff, v1, v0
	v_lshrrev_b32_e32 v26, 8, v1
	v_bfe_u32 v30, v1, 20, 11
	v_lshl_or_b32 v7, v7, 9, 0x7c00
	v_cndmask_b32_e64 v14, v25, v14, s0
	v_cmp_gt_i32_e64 s0, 31, v28
	v_and_b32_e32 v25, 7, v14
	v_cndmask_b32_e64 v13, 0x7c00, v13, s0
	v_cmp_ne_u32_e64 s0, 0, v0
	v_lshrrev_b32_e32 v14, 2, v14
	v_cmp_eq_u32_e64 s1, 3, v25
	v_cndmask_b32_e64 v0, 0, 1, s0
	v_cmp_eq_u32_e64 s0, 0x40f, v28
	v_mul_f64 v[11:12], v[11:12], s[4:5]
	v_lshrrev_b32_e32 v28, 16, v8
	v_and_or_b32 v0, 0xffe, v26, v0
	v_cndmask_b32_e64 v13, v13, v7, s0
	v_sub_nc_u32_e32 v7, 0x3f1, v30
	v_cmp_lt_i32_e64 s0, 5, v25
	v_or_b32_e32 v25, 0x1000, v0
	v_and_or_b32 v28, 0x8000, v28, v13
	v_med3_i32 v26, v7, 0, 13
	s_or_b32 s0, s1, s0
	v_add_co_ci_u32_e64 v14, s0, 0, v14, s0
	v_lshrrev_b32_e32 v31, v26, v25
	v_add_co_u32 v7, s0, v9, s10
	v_add_co_ci_u32_e64 v8, s0, s11, v10, s0
	v_lshlrev_b32_e32 v26, v26, v31
	v_cmp_gt_i32_e64 s0, 31, v27
	v_and_or_b32 v11, 0x1ff, v12, v11
	v_and_b32_e32 v28, 0xffff, v28
	global_store_dword v[7:8], v24, off
	v_cndmask_b32_e64 v32, 0x7c00, v14, s0
	v_cmp_ne_u32_e64 s0, v26, v25
	v_mul_f16_sdwa v14, v120, v33 dst_sel:DWORD dst_unused:UNUSED_PAD src0_sel:WORD_1 src1_sel:DWORD
	v_add_nc_u32_e32 v25, 0xfffffc10, v30
	v_lshrrev_b32_e32 v30, 8, v12
	v_cndmask_b32_e64 v13, 0, 1, s0
	v_cmp_ne_u32_e64 s0, 0, v5
	v_fmac_f16_e32 v14, v120, v15
	v_lshl_or_b32 v26, v25, 12, v0
	v_mul_f16_sdwa v15, v120, v15 dst_sel:DWORD dst_unused:UNUSED_PAD src0_sel:WORD_1 src1_sel:DWORD
	v_or_b32_e32 v13, v31, v13
	v_cndmask_b32_e64 v5, 0, 1, s0
	v_cmp_ne_u32_e64 s0, 0, v11
	v_bfe_u32 v31, v12, 20, 11
	v_cvt_f32_f16_e32 v14, v14
	v_lshrrev_b32_e32 v12, 16, v12
	v_lshl_or_b32 v5, v5, 9, 0x7c00
	v_cndmask_b32_e64 v11, 0, 1, s0
	v_cmp_gt_i32_e64 s0, 1, v25
	v_and_or_b32 v11, 0xffe, v30, v11
	v_sub_nc_u32_e32 v30, 0x3f1, v31
	v_cndmask_b32_e64 v26, v26, v13, s0
	v_cvt_f64_f32_e32 v[13:14], v14
	v_cmp_eq_u32_e64 s0, 0x40f, v27
	v_or_b32_e32 v35, 0x1000, v11
	v_med3_i32 v30, v30, 0, 13
	v_and_b32_e32 v34, 7, v26
	v_add_nc_u32_e32 v31, 0xfffffc10, v31
	v_cndmask_b32_e64 v5, v32, v5, s0
	v_lshrrev_b32_e32 v27, v30, v35
	v_cmp_lt_i32_e64 s0, 5, v34
	v_cmp_eq_u32_e64 s1, 3, v34
	v_and_or_b32 v32, 0x8000, v6, v5
	v_lshrrev_b32_e32 v5, 2, v26
	v_fma_f16 v6, v120, v33, -v15
	v_lshlrev_b32_e32 v15, v30, v27
	s_or_b32 s0, s1, s0
	v_add_co_ci_u32_e64 v26, s0, 0, v5, s0
	v_cmp_ne_u32_e64 s0, v15, v35
	v_cvt_f32_f16_e32 v30, v6
	v_mul_f64 v[5:6], v[13:14], s[4:5]
	v_cndmask_b32_e64 v15, 0, 1, s0
	v_cmp_ne_u32_e64 s0, 0, v0
	v_cvt_f64_f32_e32 v[13:14], v30
	v_or_b32_e32 v15, v27, v15
	v_cndmask_b32_e64 v0, 0, 1, s0
	v_cmp_gt_i32_e64 s0, 31, v25
	v_lshl_or_b32 v27, v31, 12, v11
	v_lshl_or_b32 v0, v0, 9, 0x7c00
	v_cndmask_b32_e64 v26, 0x7c00, v26, s0
	v_cmp_gt_i32_e64 s0, 1, v31
	v_cndmask_b32_e64 v15, v27, v15, s0
	v_cmp_eq_u32_e64 s0, 0x40f, v25
	v_and_or_b32 v5, 0x1ff, v6, v5
	v_lshl_or_b32 v27, v32, 16, v28
	v_and_b32_e32 v9, 7, v15
	v_cndmask_b32_e64 v25, v26, v0, s0
	v_lshrrev_b32_e32 v26, 16, v1
	ds_read2_b32 v[0:1], v88 offset0:82 offset1:181
	v_cmp_ne_u32_e64 s2, 0, v5
	v_cmp_lt_i32_e64 s0, 5, v9
	v_cmp_eq_u32_e64 s1, 3, v9
	v_mul_f64 v[9:10], v[13:14], s[4:5]
	v_lshrrev_b32_e32 v13, 2, v15
	v_cndmask_b32_e64 v5, 0, 1, s2
	v_lshrrev_b32_e32 v14, 8, v6
	v_bfe_u32 v15, v6, 20, 11
	s_or_b32 s0, s1, s0
	v_and_or_b32 v24, 0x8000, v26, v25
	v_add_co_ci_u32_e64 v13, s0, 0, v13, s0
	v_and_or_b32 v5, 0xffe, v14, v5
	v_sub_nc_u32_e32 v14, 0x3f1, v15
	v_cmp_ne_u32_e64 s0, 0, v11
	v_add_nc_u32_e32 v15, 0xfffffc10, v15
	v_or_b32_e32 v26, 0x1000, v5
	v_med3_i32 v14, v14, 0, 13
	s_waitcnt lgkmcnt(0)
	v_lshrrev_b32_e32 v25, 16, v0
	v_cndmask_b32_e64 v11, 0, 1, s0
	v_cmp_gt_i32_e64 s0, 31, v31
	v_lshrrev_b32_e32 v29, v14, v26
	v_mul_f16_sdwa v28, v119, v25 dst_sel:DWORD dst_unused:UNUSED_PAD src0_sel:WORD_1 src1_sel:DWORD
	v_lshl_or_b32 v11, v11, 9, 0x7c00
	v_cndmask_b32_e64 v13, 0x7c00, v13, s0
	v_and_or_b32 v9, 0x1ff, v10, v9
	v_cmp_eq_u32_e64 s0, 0x40f, v31
	v_fmac_f16_e32 v28, v119, v0
	v_lshlrev_b32_e32 v30, v14, v29
	v_bfe_u32 v31, v10, 20, 11
	v_mul_f16_sdwa v0, v119, v0 dst_sel:DWORD dst_unused:UNUSED_PAD src0_sel:WORD_1 src1_sel:DWORD
	v_cndmask_b32_e64 v11, v13, v11, s0
	v_cmp_ne_u32_e64 s0, 0, v9
	v_cvt_f32_f16_e32 v13, v28
	v_lshrrev_b32_e32 v28, 8, v10
	v_fma_f16 v0, v119, v25, -v0
	v_and_or_b32 v11, 0x8000, v12, v11
	v_cndmask_b32_e64 v9, 0, 1, s0
	v_cmp_ne_u32_e64 s0, v30, v26
	v_cvt_f64_f32_e32 v[13:14], v13
	v_and_b32_e32 v12, 0xffff, v24
	v_cvt_f32_f16_e32 v0, v0
	v_and_or_b32 v9, 0xffe, v28, v9
	v_cndmask_b32_e64 v26, 0, 1, s0
	v_sub_nc_u32_e32 v28, 0x3f1, v31
	v_cmp_gt_i32_e64 s0, 1, v15
	v_or_b32_e32 v30, 0x1000, v9
	v_or_b32_e32 v26, v29, v26
	v_lshl_or_b32 v29, v15, 12, v5
	v_med3_i32 v28, v28, 0, 13
	v_cndmask_b32_e64 v24, v29, v26, s0
	v_lshrrev_b32_e32 v26, v28, v30
	v_add_co_u32 v7, s0, v7, s10
	v_add_co_ci_u32_e64 v8, s0, s11, v8, s0
	v_lshlrev_b32_e32 v28, v28, v26
	v_and_b32_e32 v32, 7, v24
	v_lshl_or_b32 v29, v11, 16, v12
	v_mul_f64 v[11:12], v[13:14], s[4:5]
	v_add_co_u32 v13, s0, v7, s10
	v_cmp_ne_u32_e64 s1, v28, v30
	v_add_co_ci_u32_e64 v14, s0, s11, v8, s0
	v_cmp_lt_i32_e64 s0, 5, v32
	v_lshrrev_b32_e32 v30, 2, v24
	v_cndmask_b32_e64 v25, 0, 1, s1
	v_cmp_eq_u32_e64 s1, 3, v32
	v_add_nc_u32_e32 v28, 0xfffffc10, v31
	global_store_dword v[7:8], v27, off
	global_store_dword v[13:14], v29, off
	v_or_b32_e32 v26, v26, v25
	s_or_b32 s0, s1, s0
	v_cvt_f64_f32_e32 v[24:25], v0
	v_add_co_ci_u32_e64 v0, s0, 0, v30, s0
	v_cmp_ne_u32_e64 s0, 0, v5
	v_lshl_or_b32 v31, v28, 12, v9
	v_and_or_b32 v11, 0x1ff, v12, v11
	v_cndmask_b32_e64 v5, 0, 1, s0
	v_cmp_gt_i32_e64 s0, 1, v28
	v_bfe_u32 v32, v12, 20, 11
	v_lshl_or_b32 v5, v5, 9, 0x7c00
	v_cndmask_b32_e64 v26, v31, v26, s0
	v_cmp_gt_i32_e64 s0, 31, v15
	v_lshrrev_b32_e32 v31, 8, v12
	v_lshrrev_b32_e32 v12, 16, v12
	v_and_b32_e32 v30, 7, v26
	v_cndmask_b32_e64 v0, 0x7c00, v0, s0
	v_cmp_ne_u32_e64 s0, 0, v11
	v_cmp_eq_u32_e64 s1, 3, v30
	v_cndmask_b32_e64 v11, 0, 1, s0
	v_cmp_eq_u32_e64 s0, 0x40f, v15
	v_lshrrev_b32_e32 v15, 16, v6
	v_and_or_b32 v11, 0xffe, v31, v11
	v_cndmask_b32_e64 v0, v0, v5, s0
	v_cmp_lt_i32_e64 s0, 5, v30
	v_mul_f64 v[5:6], v[24:25], s[4:5]
	v_lshrrev_b32_e32 v24, 2, v26
	v_sub_nc_u32_e32 v31, 0x3f1, v32
	v_or_b32_e32 v25, 0x1000, v11
	s_or_b32 s0, s1, s0
	v_lshrrev_b32_e32 v30, 16, v1
	v_add_co_ci_u32_e64 v24, s0, 0, v24, s0
	v_med3_i32 v26, v31, 0, 13
	v_cmp_ne_u32_e64 s0, 0, v9
	v_and_or_b32 v0, 0x8000, v15, v0
	v_mul_f16_sdwa v33, v118, v30 dst_sel:DWORD dst_unused:UNUSED_PAD src0_sel:WORD_1 src1_sel:DWORD
	v_lshrrev_b32_e32 v31, v26, v25
	v_cndmask_b32_e64 v9, 0, 1, s0
	v_cmp_gt_i32_e64 s0, 31, v28
	v_fmac_f16_e32 v33, v118, v1
	v_and_b32_e32 v0, 0xffff, v0
	v_lshlrev_b32_e32 v15, v26, v31
	v_lshl_or_b32 v9, v9, 9, 0x7c00
	v_cndmask_b32_e64 v24, 0x7c00, v24, s0
	v_cmp_eq_u32_e64 s0, 0x40f, v28
	v_and_or_b32 v5, 0x1ff, v6, v5
	v_lshrrev_b32_e32 v26, 16, v10
	v_lshrrev_b32_e32 v28, 8, v6
	v_cndmask_b32_e64 v24, v24, v9, s0
	v_cmp_ne_u32_e64 s0, v15, v25
	v_cvt_f32_f16_e32 v9, v33
	v_add_nc_u32_e32 v25, 0xfffffc10, v32
	v_bfe_u32 v32, v6, 20, 11
	v_and_or_b32 v24, 0x8000, v26, v24
	v_cndmask_b32_e64 v15, 0, 1, s0
	v_cmp_ne_u32_e64 s0, 0, v5
	v_cvt_f64_f32_e32 v[9:10], v9
	v_lshl_or_b32 v26, v25, 12, v11
	v_lshl_or_b32 v24, v24, 16, v0
	v_or_b32_e32 v15, v31, v15
	v_cndmask_b32_e64 v5, 0, 1, s0
	v_cmp_gt_i32_e64 s0, 1, v25
	v_and_or_b32 v5, 0xffe, v28, v5
	v_sub_nc_u32_e32 v28, 0x3f1, v32
	v_cndmask_b32_e64 v15, v26, v15, s0
	v_add_co_u32 v7, s0, v13, s10
	v_or_b32_e32 v26, 0x1000, v5
	v_med3_i32 v28, v28, 0, 13
	v_and_b32_e32 v0, 7, v15
	v_add_co_ci_u32_e64 v8, s0, s11, v14, s0
	v_lshrrev_b32_e32 v27, v28, v26
	v_cmp_lt_i32_e64 s0, 5, v0
	v_mul_f64 v[9:10], v[9:10], s[4:5]
	v_cmp_eq_u32_e64 s1, 3, v0
	v_mul_f16_sdwa v0, v118, v1 dst_sel:DWORD dst_unused:UNUSED_PAD src0_sel:WORD_1 src1_sel:DWORD
	v_lshlrev_b32_e32 v13, v28, v27
	v_lshrrev_b32_e32 v1, 2, v15
	v_add_nc_u32_e32 v15, 0xfffffc10, v32
	s_or_b32 s0, s1, s0
	v_fma_f16 v0, v118, v30, -v0
	v_cmp_ne_u32_e64 s2, v13, v26
	v_add_co_ci_u32_e64 v26, s0, 0, v1, s0
	v_cmp_ne_u32_e64 s0, 0, v11
	v_lshl_or_b32 v28, v15, 12, v5
	v_cndmask_b32_e64 v13, 0, 1, s2
	global_store_dword v[7:8], v24, off
	v_cndmask_b32_e64 v11, 0, 1, s0
	v_cmp_gt_i32_e64 s0, 1, v15
	v_or_b32_e32 v27, v27, v13
	v_cvt_f32_f16_e32 v13, v0
	ds_read2_b32 v[0:1], v87 offset0:24 offset1:123
	v_lshl_or_b32 v11, v11, 9, 0x7c00
	v_and_or_b32 v9, 0x1ff, v10, v9
	v_cndmask_b32_e64 v27, v28, v27, s0
	v_cvt_f64_f32_e32 v[13:14], v13
	v_cmp_gt_i32_e64 s0, 31, v25
	v_lshrrev_b32_e32 v29, 8, v10
	v_bfe_u32 v30, v10, 20, 11
	v_and_b32_e32 v28, 7, v27
	v_lshrrev_b32_e32 v27, 2, v27
	v_cndmask_b32_e64 v26, 0x7c00, v26, s0
	v_cmp_ne_u32_e64 s0, 0, v9
	v_cmp_eq_u32_e64 s1, 3, v28
	v_cndmask_b32_e64 v9, 0, 1, s0
	v_cmp_eq_u32_e64 s0, 0x40f, v25
	v_sub_nc_u32_e32 v25, 0x3f1, v30
	v_and_or_b32 v9, 0xffe, v29, v9
	v_cndmask_b32_e64 v11, v26, v11, s0
	v_cmp_lt_i32_e64 s0, 5, v28
	v_med3_i32 v25, v25, 0, 13
	s_waitcnt lgkmcnt(0)
	v_lshrrev_b32_e32 v26, 16, v0
	v_mul_f64 v[13:14], v[13:14], s[4:5]
	v_or_b32_e32 v28, 0x1000, v9
	s_or_b32 s0, s1, s0
	v_and_or_b32 v11, 0x8000, v12, v11
	v_add_co_ci_u32_e64 v27, s0, 0, v27, s0
	v_cmp_ne_u32_e64 s0, 0, v5
	v_lshrrev_b32_e32 v31, v25, v28
	v_mul_f16_sdwa v29, v117, v26 dst_sel:DWORD dst_unused:UNUSED_PAD src0_sel:WORD_1 src1_sel:DWORD
	v_and_b32_e32 v11, 0xffff, v11
	v_cndmask_b32_e64 v5, 0, 1, s0
	v_cmp_gt_i32_e64 s0, 31, v15
	v_lshlrev_b32_e32 v25, v25, v31
	v_fmac_f16_e32 v29, v117, v0
	v_mul_f16_sdwa v0, v117, v0 dst_sel:DWORD dst_unused:UNUSED_PAD src0_sel:WORD_1 src1_sel:DWORD
	v_lshl_or_b32 v5, v5, 9, 0x7c00
	v_cndmask_b32_e64 v27, 0x7c00, v27, s0
	v_cmp_eq_u32_e64 s0, 0x40f, v15
	v_cvt_f32_f16_e32 v29, v29
	v_fma_f16 v0, v117, v26, -v0
	v_and_or_b32 v13, 0x1ff, v14, v13
	v_cndmask_b32_e64 v15, v27, v5, s0
	v_cmp_ne_u32_e64 s0, v25, v28
	v_lshrrev_b32_e32 v27, 16, v6
	v_add_nc_u32_e32 v28, 0xfffffc10, v30
	v_cvt_f64_f32_e32 v[5:6], v29
	v_bfe_u32 v29, v14, 20, 11
	v_cndmask_b32_e64 v25, 0, 1, s0
	v_cmp_ne_u32_e64 s0, 0, v13
	v_and_or_b32 v12, 0x8000, v27, v15
	v_lshrrev_b32_e32 v27, 8, v14
	v_cvt_f32_f16_e32 v0, v0
	v_or_b32_e32 v15, v31, v25
	v_lshl_or_b32 v25, v28, 12, v9
	v_cndmask_b32_e64 v13, 0, 1, s0
	v_cmp_gt_i32_e64 s0, 1, v28
	v_lshl_or_b32 v11, v12, 16, v11
	v_lshrrev_b32_e32 v14, 16, v14
	v_and_or_b32 v13, 0xffe, v27, v13
	v_cndmask_b32_e64 v15, v25, v15, s0
	v_sub_nc_u32_e32 v25, 0x3f1, v29
	v_add_co_u32 v7, s0, v7, s10
	v_or_b32_e32 v24, 0x1000, v13
	v_and_b32_e32 v12, 7, v15
	v_med3_i32 v25, v25, 0, 13
	v_add_co_ci_u32_e64 v8, s0, s11, v8, s0
	v_mul_f64 v[5:6], v[5:6], s[4:5]
	v_cmp_lt_i32_e64 s0, 5, v12
	v_lshrrev_b32_e32 v27, v25, v24
	v_cmp_eq_u32_e64 s1, 3, v12
	global_store_dword v[7:8], v11, off
	v_lshrrev_b32_e32 v11, 2, v15
	v_lshlrev_b32_e32 v12, v25, v27
	s_or_b32 s0, s1, s0
	v_add_co_ci_u32_e64 v15, s0, 0, v11, s0
	v_cmp_ne_u32_e64 s0, v12, v24
	v_add_nc_u32_e32 v24, 0xfffffc10, v29
	v_cndmask_b32_e64 v11, 0, 1, s0
	v_cmp_ne_u32_e64 s0, 0, v9
	v_lshl_or_b32 v26, v24, 12, v13
	v_or_b32_e32 v25, v27, v11
	v_cndmask_b32_e64 v9, 0, 1, s0
	v_cmp_gt_i32_e64 s0, 31, v28
	v_and_or_b32 v5, 0x1ff, v6, v5
	v_cvt_f64_f32_e32 v[11:12], v0
	v_lshl_or_b32 v9, v9, 9, 0x7c00
	v_cndmask_b32_e64 v0, 0x7c00, v15, s0
	v_cmp_gt_i32_e64 s0, 1, v24
	v_cndmask_b32_e64 v15, v26, v25, s0
	v_cmp_ne_u32_e64 s0, 0, v5
	v_lshrrev_b32_e32 v25, 8, v6
	v_bfe_u32 v26, v6, 20, 11
	v_lshrrev_b32_e32 v6, 16, v6
	v_cndmask_b32_e64 v5, 0, 1, s0
	v_cmp_eq_u32_e64 s0, 0x40f, v28
	v_sub_nc_u32_e32 v27, 0x3f1, v26
	v_lshrrev_b32_e32 v28, 16, v10
	v_add_nc_u32_e32 v26, 0xfffffc10, v26
	v_and_or_b32 v5, 0xffe, v25, v5
	v_cndmask_b32_e64 v0, v0, v9, s0
	v_and_b32_e32 v9, 7, v15
	v_lshrrev_b32_e32 v25, 16, v1
	v_lshrrev_b32_e32 v15, 2, v15
	v_or_b32_e32 v29, 0x1000, v5
	v_med3_i32 v27, v27, 0, 13
	v_cmp_lt_i32_e64 s0, 5, v9
	v_cmp_eq_u32_e64 s1, 3, v9
	v_mul_f16_sdwa v30, v116, v25 dst_sel:DWORD dst_unused:UNUSED_PAD src0_sel:WORD_1 src1_sel:DWORD
	v_mul_f64 v[9:10], v[11:12], s[4:5]
	v_lshrrev_b32_e32 v31, v27, v29
	v_and_or_b32 v0, 0x8000, v28, v0
	s_or_b32 s0, s1, s0
	v_fmac_f16_e32 v30, v116, v1
	v_add_co_ci_u32_e64 v11, s0, 0, v15, s0
	v_cmp_ne_u32_e64 s0, 0, v13
	v_lshlrev_b32_e32 v15, v27, v31
	v_cvt_f32_f16_e32 v12, v30
	v_and_b32_e32 v0, 0xffff, v0
	v_cndmask_b32_e64 v13, 0, 1, s0
	v_cmp_gt_i32_e64 s0, 31, v24
	v_lshl_or_b32 v13, v13, 9, 0x7c00
	v_cndmask_b32_e64 v27, 0x7c00, v11, s0
	v_cmp_ne_u32_e64 s0, v15, v29
	v_cvt_f64_f32_e32 v[11:12], v12
	v_and_or_b32 v9, 0x1ff, v10, v9
	v_cndmask_b32_e64 v15, 0, 1, s0
	v_cmp_eq_u32_e64 s0, 0x40f, v24
	v_lshl_or_b32 v24, v26, 12, v5
	v_or_b32_e32 v15, v31, v15
	v_cndmask_b32_e64 v13, v27, v13, s0
	v_cmp_gt_i32_e64 s0, 1, v26
	v_and_or_b32 v13, 0x8000, v14, v13
	v_cndmask_b32_e64 v14, v24, v15, s0
	v_cmp_ne_u32_e64 s0, 0, v9
	v_lshrrev_b32_e32 v15, 8, v10
	v_bfe_u32 v24, v10, 20, 11
	v_lshl_or_b32 v28, v13, 16, v0
	v_and_b32_e32 v27, 7, v14
	v_cndmask_b32_e64 v9, 0, 1, s0
	v_mul_f64 v[11:12], v[11:12], s[4:5]
	v_sub_nc_u32_e32 v0, 0x3f1, v24
	v_lshrrev_b32_e32 v13, 2, v14
	v_cmp_lt_i32_e64 s0, 5, v27
	v_and_or_b32 v9, 0xffe, v15, v9
	v_cmp_eq_u32_e64 s1, 3, v27
	v_med3_i32 v15, v0, 0, 13
	v_mul_f16_sdwa v0, v116, v1 dst_sel:DWORD dst_unused:UNUSED_PAD src0_sel:WORD_1 src1_sel:DWORD
	v_add_nc_u32_e32 v24, 0xfffffc10, v24
	v_or_b32_e32 v14, 0x1000, v9
	s_or_b32 s0, s1, s0
	v_lshrrev_b32_e32 v10, 16, v10
	v_add_co_ci_u32_e64 v13, s0, 0, v13, s0
	v_lshrrev_b32_e32 v27, v15, v14
	v_fma_f16 v25, v116, v25, -v0
	v_add_co_u32 v0, s0, v7, s10
	v_add_co_ci_u32_e64 v1, s0, s11, v8, s0
	v_lshlrev_b32_e32 v15, v15, v27
	v_cmp_gt_i32_e64 s0, 31, v26
	v_cvt_f32_f16_e32 v7, v25
	v_and_or_b32 v11, 0x1ff, v12, v11
	v_lshrrev_b32_e32 v29, 8, v12
	v_bfe_u32 v30, v12, 20, 11
	v_cndmask_b32_e64 v25, 0x7c00, v13, s0
	v_cmp_ne_u32_e64 s0, v15, v14
	v_cvt_f64_f32_e32 v[7:8], v7
	ds_read2_b32 v[13:14], v91 offset0:94 offset1:193
	global_store_dword v[0:1], v28, off
	v_lshrrev_b32_e32 v12, 16, v12
	v_cndmask_b32_e64 v15, 0, 1, s0
	v_cmp_ne_u32_e64 s0, 0, v11
	v_or_b32_e32 v15, v27, v15
	v_cndmask_b32_e64 v11, 0, 1, s0
	v_cmp_ne_u32_e64 s0, 0, v5
	v_lshl_or_b32 v27, v24, 12, v9
	v_and_or_b32 v11, 0xffe, v29, v11
	v_cndmask_b32_e64 v5, 0, 1, s0
	v_sub_nc_u32_e32 v29, 0x3f1, v30
	v_cmp_gt_i32_e64 s0, 1, v24
	v_lshl_or_b32 v5, v5, 9, 0x7c00
	v_med3_i32 v29, v29, 0, 13
	v_cndmask_b32_e64 v15, v27, v15, s0
	v_or_b32_e32 v27, 0x1000, v11
	v_cmp_eq_u32_e64 s0, 0x40f, v26
	v_mul_f64 v[7:8], v[7:8], s[4:5]
	s_waitcnt lgkmcnt(0)
	v_lshrrev_b32_e32 v28, 16, v13
	v_and_b32_e32 v26, 7, v15
	v_lshrrev_b32_e32 v15, 2, v15
	v_cndmask_b32_e64 v5, v25, v5, s0
	v_lshrrev_b32_e32 v25, v29, v27
	v_cmp_lt_i32_e64 s0, 5, v26
	v_cmp_eq_u32_e64 s1, 3, v26
	v_and_or_b32 v31, 0x8000, v6, v5
	v_lshlrev_b32_e32 v5, v29, v25
	v_add_nc_u32_e32 v26, 0xfffffc10, v30
	v_mul_f16_sdwa v6, v115, v28 dst_sel:DWORD dst_unused:UNUSED_PAD src0_sel:WORD_1 src1_sel:DWORD
	s_or_b32 s0, s1, s0
	v_cmp_ne_u32_e64 s2, v5, v27
	v_add_co_ci_u32_e64 v15, s0, 0, v15, s0
	v_cmp_ne_u32_e64 s0, 0, v9
	v_lshl_or_b32 v27, v26, 12, v11
	v_cndmask_b32_e64 v5, 0, 1, s2
	v_fmac_f16_e32 v6, v115, v13
	v_and_or_b32 v7, 0x1ff, v8, v7
	v_cndmask_b32_e64 v9, 0, 1, s0
	v_cmp_gt_i32_e64 s0, 1, v26
	v_or_b32_e32 v25, v25, v5
	v_cvt_f32_f16_e32 v5, v6
	v_bfe_u32 v29, v8, 20, 11
	v_lshl_or_b32 v9, v9, 9, 0x7c00
	v_mul_f16_sdwa v13, v115, v13 dst_sel:DWORD dst_unused:UNUSED_PAD src0_sel:WORD_1 src1_sel:DWORD
	v_cndmask_b32_e64 v25, v27, v25, s0
	v_cmp_ne_u32_e64 s0, 0, v7
	v_lshrrev_b32_e32 v27, 8, v8
	v_cvt_f64_f32_e32 v[5:6], v5
	v_lshrrev_b32_e32 v8, 16, v8
	v_and_b32_e32 v30, 7, v25
	v_cndmask_b32_e64 v7, 0, 1, s0
	v_cmp_gt_i32_e64 s0, 31, v24
	v_cmp_eq_u32_e64 s1, 3, v30
	v_and_or_b32 v7, 0xffe, v27, v7
	v_cndmask_b32_e64 v15, 0x7c00, v15, s0
	v_sub_nc_u32_e32 v27, 0x3f1, v29
	v_cmp_eq_u32_e64 s0, 0x40f, v24
	v_med3_i32 v24, v27, 0, 13
	v_cndmask_b32_e64 v9, v15, v9, s0
	v_or_b32_e32 v15, 0x1000, v7
	v_cmp_lt_i32_e64 s0, 5, v30
	v_and_or_b32 v30, 0x8000, v10, v9
	v_lshrrev_b32_e32 v27, v24, v15
	v_lshrrev_b32_e32 v9, 2, v25
	v_fma_f16 v10, v115, v28, -v13
	s_or_b32 s0, s1, s0
	v_mul_f64 v[5:6], v[5:6], s[4:5]
	v_lshlrev_b32_e32 v13, v24, v27
	v_add_co_ci_u32_e64 v24, s0, 0, v9, s0
	v_cvt_f32_f16_e32 v9, v10
	v_lshrrev_b32_e32 v28, 16, v14
	v_cmp_ne_u32_e64 s0, v13, v15
	v_add_nc_u32_e32 v15, 0xfffffc10, v29
	v_cvt_f64_f32_e32 v[9:10], v9
	v_cndmask_b32_e64 v13, 0, 1, s0
	v_cmp_ne_u32_e64 s0, 0, v11
	v_lshl_or_b32 v25, v15, 12, v7
	v_or_b32_e32 v13, v27, v13
	v_cndmask_b32_e64 v11, 0, 1, s0
	v_cmp_gt_i32_e64 s0, 31, v26
	v_lshl_or_b32 v11, v11, 9, 0x7c00
	v_cndmask_b32_e64 v24, 0x7c00, v24, s0
	v_cmp_gt_i32_e64 s0, 1, v15
	v_and_or_b32 v5, 0x1ff, v6, v5
	v_bfe_u32 v27, v6, 20, 11
	v_cndmask_b32_e64 v13, v25, v13, s0
	v_cmp_eq_u32_e64 s0, 0x40f, v26
	v_lshrrev_b32_e32 v26, 8, v6
	v_mul_f64 v[9:10], v[9:10], s[4:5]
	v_and_b32_e32 v25, 0xffff, v31
	v_cndmask_b32_e64 v11, v24, v11, s0
	v_and_b32_e32 v24, 7, v13
	v_cmp_ne_u32_e64 s0, 0, v5
	v_lshrrev_b32_e32 v13, 2, v13
	v_and_or_b32 v11, 0x8000, v12, v11
	v_cmp_eq_u32_e64 s1, 3, v24
	v_cndmask_b32_e64 v5, 0, 1, s0
	v_cmp_lt_i32_e64 s0, 5, v24
	v_and_b32_e32 v11, 0xffff, v11
	v_and_or_b32 v26, 0xffe, v26, v5
	s_or_b32 s0, s1, s0
	v_sub_nc_u32_e32 v5, 0x3f1, v27
	v_add_co_ci_u32_e64 v13, s0, 0, v13, s0
	v_cmp_ne_u32_e64 s0, 0, v7
	v_or_b32_e32 v24, 0x1000, v26
	v_med3_i32 v5, v5, 0, 13
	v_cndmask_b32_e64 v7, 0, 1, s0
	v_cmp_gt_i32_e64 s0, 31, v15
	v_lshrrev_b32_e32 v29, v5, v24
	v_lshl_or_b32 v7, v7, 9, 0x7c00
	v_cndmask_b32_e64 v13, 0x7c00, v13, s0
	v_cmp_eq_u32_e64 s0, 0x40f, v15
	v_lshlrev_b32_e32 v5, v5, v29
	v_lshl_or_b32 v15, v30, 16, v25
	v_bfe_u32 v25, v10, 20, 11
	v_cndmask_b32_e64 v7, v13, v7, s0
	v_mul_f16_sdwa v13, v114, v28 dst_sel:DWORD dst_unused:UNUSED_PAD src0_sel:WORD_1 src1_sel:DWORD
	v_cmp_ne_u32_e64 s0, v5, v24
	v_lshrrev_b32_e32 v24, 8, v10
	v_and_or_b32 v12, 0x8000, v8, v7
	v_fmac_f16_e32 v13, v114, v14
	v_and_or_b32 v7, 0x1ff, v10, v9
	v_cndmask_b32_e64 v5, 0, 1, s0
	v_add_nc_u32_e32 v9, 0xfffffc10, v27
	v_mul_f16_sdwa v14, v114, v14 dst_sel:DWORD dst_unused:UNUSED_PAD src0_sel:WORD_1 src1_sel:DWORD
	v_cvt_f32_f16_e32 v8, v13
	v_cmp_ne_u32_e64 s0, 0, v7
	v_or_b32_e32 v5, v29, v5
	v_lshl_or_b32 v27, v9, 12, v26
	v_fma_f16 v14, v114, v28, -v14
	v_cvt_f64_f32_e32 v[7:8], v8
	v_cndmask_b32_e64 v13, 0, 1, s0
	v_cmp_gt_i32_e64 s0, 1, v9
	v_cvt_f32_f16_e32 v14, v14
	v_and_or_b32 v29, 0xffe, v24, v13
	v_sub_nc_u32_e32 v13, 0x3f1, v25
	v_cndmask_b32_e64 v5, v27, v5, s0
	v_add_co_u32 v0, s0, v0, s10
	v_or_b32_e32 v24, 0x1000, v29
	v_med3_i32 v13, v13, 0, 13
	v_add_co_ci_u32_e64 v1, s0, s11, v1, s0
	v_and_b32_e32 v30, 7, v5
	v_lshl_or_b32 v27, v12, 16, v11
	v_lshrrev_b32_e32 v31, v13, v24
	v_add_co_u32 v11, s0, v0, s10
	v_add_co_ci_u32_e64 v12, s0, s11, v1, s0
	v_mul_f64 v[7:8], v[7:8], s[4:5]
	v_lshlrev_b32_e32 v13, v13, v31
	v_cmp_lt_i32_e64 s0, 5, v30
	v_cmp_eq_u32_e64 s1, 3, v30
	v_lshrrev_b32_e32 v28, 2, v5
	v_add_nc_u32_e32 v30, 0xfffffc10, v25
	v_cmp_ne_u32_e64 s2, v13, v24
	v_add_nc_u32_e32 v5, 0x1200, v107
	s_or_b32 s0, s1, s0
	v_add_co_ci_u32_e64 v28, s0, 0, v28, s0
	v_cndmask_b32_e64 v13, 0, 1, s2
	v_cmp_ne_u32_e64 s0, 0, v26
	v_lshl_or_b32 v32, v30, 12, v29
	ds_read2_b32 v[24:25], v5 offset0:36 offset1:135
	global_store_dword v[0:1], v15, off
	global_store_dword v[11:12], v27, off
	v_or_b32_e32 v31, v31, v13
	v_cvt_f64_f32_e32 v[13:14], v14
	v_cndmask_b32_e64 v26, 0, 1, s0
	v_cmp_gt_i32_e64 s0, 1, v30
	v_and_or_b32 v7, 0x1ff, v8, v7
	v_lshrrev_b32_e32 v33, 8, v8
	v_lshl_or_b32 v26, v26, 9, 0x7c00
	v_cndmask_b32_e64 v31, v32, v31, s0
	v_cmp_gt_i32_e64 s0, 31, v9
	v_bfe_u32 v34, v8, 20, 11
	v_lshrrev_b32_e32 v8, 16, v8
	v_and_b32_e32 v32, 7, v31
	v_cndmask_b32_e64 v28, 0x7c00, v28, s0
	v_cmp_ne_u32_e64 s0, 0, v7
	v_cmp_eq_u32_e64 s1, 3, v32
	v_cndmask_b32_e64 v7, 0, 1, s0
	v_cmp_eq_u32_e64 s0, 0x40f, v9
	v_cndmask_b32_e64 v9, v28, v26, s0
	v_cmp_lt_i32_e64 s0, 5, v32
	v_lshrrev_b32_e32 v26, 16, v6
	v_and_or_b32 v28, 0xffe, v33, v7
	v_mul_f64 v[6:7], v[13:14], s[4:5]
	v_lshrrev_b32_e32 v14, 2, v31
	v_sub_nc_u32_e32 v33, 0x3f1, v34
	s_or_b32 s0, s1, s0
	v_or_b32_e32 v31, 0x1000, v28
	s_waitcnt lgkmcnt(0)
	v_lshrrev_b32_e32 v13, 16, v24
	v_add_co_ci_u32_e64 v14, s0, 0, v14, s0
	v_med3_i32 v32, v33, 0, 13
	v_cmp_ne_u32_e64 s0, 0, v29
	v_mul_f16_sdwa v33, v113, v13 dst_sel:DWORD dst_unused:UNUSED_PAD src0_sel:WORD_1 src1_sel:DWORD
	v_and_or_b32 v26, 0x8000, v26, v9
	v_lshrrev_b32_e32 v35, v32, v31
	v_cndmask_b32_e64 v29, 0, 1, s0
	v_cmp_gt_i32_e64 s0, 31, v30
	v_fmac_f16_e32 v33, v113, v24
	v_and_b32_e32 v26, 0xffff, v26
	v_lshlrev_b32_e32 v32, v32, v35
	v_lshl_or_b32 v29, v29, 9, 0x7c00
	v_cndmask_b32_e64 v14, 0x7c00, v14, s0
	v_cmp_eq_u32_e64 s0, 0x40f, v30
	v_and_or_b32 v6, 0x1ff, v7, v6
	v_cvt_f32_f16_e32 v9, v33
	v_bfe_u32 v33, v7, 20, 11
	v_cndmask_b32_e64 v14, v14, v29, s0
	v_cmp_ne_u32_e64 s0, v32, v31
	v_lshrrev_b32_e32 v29, 16, v10
	v_cvt_f64_f32_e32 v[9:10], v9
	v_add_nc_u32_e32 v31, 0xfffffc10, v34
	v_lshrrev_b32_e32 v32, 8, v7
	v_cndmask_b32_e64 v30, 0, 1, s0
	v_cmp_ne_u32_e64 s0, 0, v6
	v_and_or_b32 v14, 0x8000, v29, v14
	v_or_b32_e32 v29, v35, v30
	v_cndmask_b32_e64 v6, 0, 1, s0
	v_lshl_or_b32 v30, v31, 12, v28
	v_cmp_gt_i32_e64 s0, 1, v31
	v_lshl_or_b32 v14, v14, 16, v26
	v_and_or_b32 v6, 0xffe, v32, v6
	v_sub_nc_u32_e32 v32, 0x3f1, v33
	v_cndmask_b32_e64 v29, v30, v29, s0
	v_or_b32_e32 v30, 0x1000, v6
	v_med3_i32 v32, v32, 0, 13
	v_and_b32_e32 v15, 7, v29
	v_mul_f64 v[0:1], v[9:10], s[4:5]
	v_add_co_u32 v9, s0, v11, s10
	v_lshrrev_b32_e32 v26, v32, v30
	v_add_co_ci_u32_e64 v10, s0, s11, v12, s0
	v_cmp_lt_i32_e64 s0, 5, v15
	v_cmp_eq_u32_e64 s1, 3, v15
	v_lshlrev_b32_e32 v11, v32, v26
	v_mul_f16_sdwa v12, v113, v24 dst_sel:DWORD dst_unused:UNUSED_PAD src0_sel:WORD_1 src1_sel:DWORD
	v_lshrrev_b32_e32 v15, 2, v29
	global_store_dword v[9:10], v14, off
	s_or_b32 s0, s1, s0
	v_cmp_ne_u32_e64 s2, v11, v30
	v_fma_f16 v12, v113, v13, -v12
	v_add_co_ci_u32_e64 v15, s0, 0, v15, s0
	v_add_nc_u32_e32 v13, 0xfffffc10, v33
	v_cndmask_b32_e64 v11, 0, 1, s2
	v_cmp_ne_u32_e64 s0, 0, v28
	v_cvt_f32_f16_e32 v12, v12
	v_and_or_b32 v0, 0x1ff, v1, v0
	v_or_b32_e32 v24, v26, v11
	v_lshl_or_b32 v26, v13, 12, v6
	v_cndmask_b32_e64 v27, 0, 1, s0
	v_cmp_gt_i32_e64 s0, 1, v13
	v_cvt_f64_f32_e32 v[11:12], v12
	v_lshrrev_b32_e32 v28, 8, v1
	v_bfe_u32 v29, v1, 20, 11
	v_cndmask_b32_e64 v24, v26, v24, s0
	v_cmp_gt_i32_e64 s0, 31, v31
	v_lshl_or_b32 v26, v27, 9, 0x7c00
	v_and_b32_e32 v27, 7, v24
	v_cndmask_b32_e64 v15, 0x7c00, v15, s0
	v_cmp_ne_u32_e64 s0, 0, v0
	v_lshrrev_b32_e32 v24, 2, v24
	v_cmp_eq_u32_e64 s1, 3, v27
	v_cndmask_b32_e64 v0, 0, 1, s0
	v_cmp_eq_u32_e64 s0, 0x40f, v31
	v_and_or_b32 v0, 0xffe, v28, v0
	v_cndmask_b32_e64 v15, v15, v26, s0
	v_cmp_lt_i32_e64 s0, 5, v27
	v_lshrrev_b32_e32 v27, 16, v25
	v_mul_f64 v[11:12], v[11:12], s[4:5]
	v_sub_nc_u32_e32 v26, 0x3f1, v29
	v_or_b32_e32 v28, 0x1000, v0
	s_or_b32 s0, s1, s0
	v_mul_f16_sdwa v30, v112, v27 dst_sel:DWORD dst_unused:UNUSED_PAD src0_sel:WORD_1 src1_sel:DWORD
	v_add_co_ci_u32_e64 v24, s0, 0, v24, s0
	v_cmp_ne_u32_e64 s0, 0, v6
	v_med3_i32 v26, v26, 0, 13
	v_fmac_f16_e32 v30, v112, v25
	v_and_or_b32 v8, 0x8000, v8, v15
	v_cndmask_b32_e64 v6, 0, 1, s0
	v_cmp_gt_i32_e64 s0, 31, v13
	v_lshrrev_b32_e32 v31, v26, v28
	v_cvt_f32_f16_e32 v30, v30
	v_and_b32_e32 v8, 0xffff, v8
	v_lshl_or_b32 v6, v6, 9, 0x7c00
	v_cndmask_b32_e64 v24, 0x7c00, v24, s0
	v_cmp_eq_u32_e64 s0, 0x40f, v13
	v_lshlrev_b32_e32 v26, v26, v31
	v_and_or_b32 v11, 0x1ff, v12, v11
	v_cndmask_b32_e64 v13, v24, v6, s0
	v_lshrrev_b32_e32 v24, 16, v7
	v_cvt_f64_f32_e32 v[6:7], v30
	v_cmp_ne_u32_e64 s0, v26, v28
	v_add_nc_u32_e32 v28, 0xfffffc10, v29
	v_bfe_u32 v29, v12, 20, 11
	v_and_or_b32 v13, 0x8000, v24, v13
	v_cndmask_b32_e64 v26, 0, 1, s0
	v_cmp_ne_u32_e64 s0, 0, v11
	v_lshl_or_b32 v24, v28, 12, v0
	v_lshl_or_b32 v13, v13, 16, v8
	v_or_b32_e32 v15, v31, v26
	v_cndmask_b32_e64 v11, 0, 1, s0
	v_lshrrev_b32_e32 v26, 8, v12
	v_cmp_gt_i32_e64 s0, 1, v28
	v_lshrrev_b32_e32 v12, 16, v12
	v_cndmask_b32_e64 v15, v24, v15, s0
	v_and_or_b32 v24, 0xffe, v26, v11
	v_sub_nc_u32_e32 v11, 0x3f1, v29
	v_mul_f64 v[6:7], v[6:7], s[4:5]
	v_add_co_u32 v8, s0, v9, s10
	v_or_b32_e32 v26, 0x1000, v24
	v_med3_i32 v11, v11, 0, 13
	v_and_b32_e32 v14, 7, v15
	v_add_co_ci_u32_e64 v9, s0, s11, v10, s0
	v_mul_f16_sdwa v10, v112, v25 dst_sel:DWORD dst_unused:UNUSED_PAD src0_sel:WORD_1 src1_sel:DWORD
	v_lshrrev_b32_e32 v30, v11, v26
	v_cmp_lt_i32_e64 s0, 5, v14
	v_cmp_eq_u32_e64 s1, 3, v14
	global_store_dword v[8:9], v13, off
	v_lshrrev_b32_e32 v13, 2, v15
	v_lshlrev_b32_e32 v14, v11, v30
	v_fma_f16 v15, v112, v27, -v10
	s_or_b32 s0, s1, s0
	ds_read2_b32 v[10:11], v90 offset0:106 offset1:205
	v_add_co_ci_u32_e64 v13, s0, 0, v13, s0
	v_cmp_ne_u32_e64 s0, v14, v26
	v_cvt_f32_f16_e32 v14, v15
	v_and_or_b32 v6, 0x1ff, v7, v6
	v_add_nc_u32_e32 v15, 0xfffffc10, v29
	v_lshrrev_b32_e32 v29, 8, v7
	v_cndmask_b32_e64 v25, 0, 1, s0
	v_cmp_gt_i32_e64 s0, 31, v28
	v_lshl_or_b32 v27, v15, 12, v24
	v_or_b32_e32 v25, v30, v25
	v_cndmask_b32_e64 v26, 0x7c00, v13, s0
	v_cmp_ne_u32_e64 s0, 0, v6
	v_cvt_f64_f32_e32 v[13:14], v14
	v_bfe_u32 v30, v7, 20, 11
	v_cndmask_b32_e64 v6, 0, 1, s0
	v_cmp_ne_u32_e64 s0, 0, v0
	v_and_or_b32 v6, 0xffe, v29, v6
	v_cndmask_b32_e64 v0, 0, 1, s0
	v_cmp_gt_i32_e64 s0, 1, v15
	s_waitcnt lgkmcnt(0)
	v_lshrrev_b32_e32 v29, 16, v10
	v_or_b32_e32 v32, 0x1000, v6
	v_lshl_or_b32 v0, v0, 9, 0x7c00
	v_cndmask_b32_e64 v25, v27, v25, s0
	v_sub_nc_u32_e32 v27, 0x3f1, v30
	v_cmp_eq_u32_e64 s0, 0x40f, v28
	v_mul_f16_sdwa v33, v111, v29 dst_sel:DWORD dst_unused:UNUSED_PAD src0_sel:WORD_1 src1_sel:DWORD
	v_add_nc_u32_e32 v30, 0xfffffc10, v30
	v_and_b32_e32 v31, 7, v25
	v_med3_i32 v27, v27, 0, 13
	v_cndmask_b32_e64 v26, v26, v0, s0
	v_lshrrev_b32_e32 v0, 2, v25
	v_mul_f64 v[13:14], v[13:14], s[4:5]
	v_cmp_lt_i32_e64 s0, 5, v31
	v_cmp_eq_u32_e64 s1, 3, v31
	v_lshrrev_b32_e32 v28, v27, v32
	v_fmac_f16_e32 v33, v111, v10
	v_lshrrev_b32_e32 v31, 16, v1
	v_mul_f16_sdwa v10, v111, v10 dst_sel:DWORD dst_unused:UNUSED_PAD src0_sel:WORD_1 src1_sel:DWORD
	s_or_b32 s0, s1, s0
	v_lshlrev_b32_e32 v25, v27, v28
	v_add_co_ci_u32_e64 v27, s0, 0, v0, s0
	v_cmp_ne_u32_e64 s0, 0, v24
	v_cvt_f32_f16_e32 v1, v33
	v_and_or_b32 v26, 0x8000, v31, v26
	v_fma_f16 v10, v111, v29, -v10
	v_lshrrev_b32_e32 v33, 16, v11
	v_cndmask_b32_e64 v24, 0, 1, s0
	v_cmp_ne_u32_e64 s0, v25, v32
	v_cvt_f64_f32_e32 v[0:1], v1
	v_and_b32_e32 v26, 0xffff, v26
	v_cvt_f32_f16_e32 v10, v10
	v_lshl_or_b32 v24, v24, 9, 0x7c00
	v_cndmask_b32_e64 v25, 0, 1, s0
	v_cmp_gt_i32_e64 s0, 31, v15
	v_and_or_b32 v13, 0x1ff, v14, v13
	v_or_b32_e32 v25, v28, v25
	v_cndmask_b32_e64 v27, 0x7c00, v27, s0
	v_cmp_eq_u32_e64 s0, 0x40f, v15
	v_lshl_or_b32 v28, v30, 12, v6
	v_cndmask_b32_e64 v15, v27, v24, s0
	v_cmp_gt_i32_e64 s0, 1, v30
	v_bfe_u32 v27, v14, 20, 11
	v_and_or_b32 v12, 0x8000, v12, v15
	v_cndmask_b32_e64 v24, v28, v25, s0
	v_cmp_ne_u32_e64 s0, 0, v13
	v_lshrrev_b32_e32 v25, 8, v14
	v_mul_f64 v[0:1], v[0:1], s[4:5]
	v_lshl_or_b32 v26, v12, 16, v26
	v_and_b32_e32 v28, 7, v24
	v_cndmask_b32_e64 v13, 0, 1, s0
	v_lshrrev_b32_e32 v24, 2, v24
	v_lshrrev_b32_e32 v14, 16, v14
	v_cmp_lt_i32_e64 s0, 5, v28
	v_and_or_b32 v25, 0xffe, v25, v13
	v_sub_nc_u32_e32 v13, 0x3f1, v27
	v_cmp_eq_u32_e64 s1, 3, v28
	v_or_b32_e32 v15, 0x1000, v25
	v_med3_i32 v13, v13, 0, 13
	s_or_b32 s0, s1, s0
	v_add_co_ci_u32_e64 v24, s0, 0, v24, s0
	v_lshrrev_b32_e32 v28, v13, v15
	v_cmp_gt_i32_e64 s0, 31, v30
	v_and_or_b32 v0, 0x1ff, v1, v0
	v_bfe_u32 v29, v1, 20, 11
	v_lshlrev_b32_e32 v12, v13, v28
	v_cndmask_b32_e64 v24, 0x7c00, v24, s0
	v_cmp_ne_u32_e64 s0, v12, v15
	v_cvt_f64_f32_e32 v[12:13], v10
	v_add_nc_u32_e32 v10, 0xfffffc10, v27
	v_lshrrev_b32_e32 v27, 8, v1
	v_lshrrev_b32_e32 v1, 16, v1
	v_cndmask_b32_e64 v15, 0, 1, s0
	v_cmp_ne_u32_e64 s0, 0, v0
	v_or_b32_e32 v15, v28, v15
	v_cndmask_b32_e64 v0, 0, 1, s0
	v_cmp_ne_u32_e64 s0, 0, v6
	v_lshl_or_b32 v28, v10, 12, v25
	v_and_or_b32 v0, 0xffe, v27, v0
	v_cndmask_b32_e64 v6, 0, 1, s0
	v_cmp_gt_i32_e64 s0, 1, v10
	v_sub_nc_u32_e32 v27, 0x3f1, v29
	v_lshl_or_b32 v6, v6, 9, 0x7c00
	v_cndmask_b32_e64 v15, v28, v15, s0
	v_cmp_eq_u32_e64 s0, 0x40f, v30
	v_or_b32_e32 v28, 0x1000, v0
	v_med3_i32 v27, v27, 0, 13
	v_lshrrev_b32_e32 v30, 16, v7
	v_and_b32_e32 v31, 7, v15
	v_cndmask_b32_e64 v24, v24, v6, s0
	v_mul_f64 v[6:7], v[12:13], s[4:5]
	v_lshrrev_b32_e32 v32, v27, v28
	v_add_co_u32 v8, s0, v8, s10
	v_add_co_ci_u32_e64 v9, s0, s11, v9, s0
	v_lshlrev_b32_e32 v13, v27, v32
	v_mul_f16_sdwa v12, v110, v33 dst_sel:DWORD dst_unused:UNUSED_PAD src0_sel:WORD_1 src1_sel:DWORD
	v_cmp_lt_i32_e64 s0, 5, v31
	v_cmp_eq_u32_e64 s1, 3, v31
	v_lshrrev_b32_e32 v15, 2, v15
	v_cmp_ne_u32_e64 s2, v13, v28
	v_fmac_f16_e32 v12, v110, v11
	v_add_nc_u32_e32 v27, 0xfffffc10, v29
	s_or_b32 s0, s1, s0
	v_and_or_b32 v24, 0x8000, v30, v24
	v_add_co_ci_u32_e64 v15, s0, 0, v15, s0
	v_cndmask_b32_e64 v13, 0, 1, s2
	v_cmp_ne_u32_e64 s0, 0, v25
	v_cvt_f32_f16_e32 v12, v12
	v_lshl_or_b32 v29, v27, 12, v0
	v_and_or_b32 v6, 0x1ff, v7, v6
	v_or_b32_e32 v28, v32, v13
	v_cndmask_b32_e64 v25, 0, 1, s0
	v_cmp_gt_i32_e64 s0, 1, v27
	v_cvt_f64_f32_e32 v[12:13], v12
	v_bfe_u32 v30, v7, 20, 11
	v_and_b32_e32 v24, 0xffff, v24
	v_lshl_or_b32 v25, v25, 9, 0x7c00
	v_cndmask_b32_e64 v28, v29, v28, s0
	v_cmp_ne_u32_e64 s0, 0, v6
	v_lshrrev_b32_e32 v29, 8, v7
	v_mul_f16_sdwa v11, v110, v11 dst_sel:DWORD dst_unused:UNUSED_PAD src0_sel:WORD_1 src1_sel:DWORD
	v_and_b32_e32 v31, 7, v28
	v_cndmask_b32_e64 v6, 0, 1, s0
	v_cmp_gt_i32_e64 s0, 31, v10
	v_fma_f16 v11, v110, v33, -v11
	v_cmp_eq_u32_e64 s1, 3, v31
	v_and_or_b32 v6, 0xffe, v29, v6
	v_cndmask_b32_e64 v15, 0x7c00, v15, s0
	v_cmp_eq_u32_e64 s0, 0x40f, v10
	ds_read_b32 v29, v107 offset:6336
	v_cndmask_b32_e64 v10, v15, v25, s0
	v_sub_nc_u32_e32 v15, 0x3f1, v30
	v_cmp_lt_i32_e64 s0, 5, v31
	v_mul_f64 v[12:13], v[12:13], s[4:5]
	v_or_b32_e32 v25, 0x1000, v6
	v_and_or_b32 v10, 0x8000, v14, v10
	v_lshrrev_b32_e32 v14, 2, v28
	v_med3_i32 v15, v15, 0, 13
	s_or_b32 s0, s1, s0
	v_lshl_or_b32 v24, v10, 16, v24
	v_add_co_ci_u32_e64 v14, s0, 0, v14, s0
	v_lshrrev_b32_e32 v28, v15, v25
	v_cmp_ne_u32_e64 s0, 0, v0
	v_lshlrev_b32_e32 v10, v15, v28
	v_cndmask_b32_e64 v0, 0, 1, s0
	v_cmp_gt_i32_e64 s0, 31, v27
	v_lshl_or_b32 v0, v0, 9, 0x7c00
	v_cndmask_b32_e64 v14, 0x7c00, v14, s0
	v_cmp_ne_u32_e64 s0, v10, v25
	v_and_or_b32 v12, 0x1ff, v13, v12
	v_add_nc_u32_e32 v25, 0xfffffc10, v30
	v_cndmask_b32_e64 v10, 0, 1, s0
	v_cmp_eq_u32_e64 s0, 0x40f, v27
	v_lshl_or_b32 v15, v25, 12, v6
	v_lshrrev_b32_e32 v27, 8, v13
	v_cndmask_b32_e64 v0, v14, v0, s0
	v_cmp_ne_u32_e64 s0, 0, v12
	v_or_b32_e32 v14, v28, v10
	v_cvt_f32_f16_e32 v10, v11
	v_bfe_u32 v28, v13, 20, 11
	v_and_or_b32 v35, 0x8000, v1, v0
	v_cndmask_b32_e64 v12, 0, 1, s0
	v_cmp_gt_i32_e64 s0, 1, v25
	v_cvt_f64_f32_e32 v[10:11], v10
	v_lshrrev_b32_e32 v13, 16, v13
	v_and_or_b32 v12, 0xffe, v27, v12
	v_cndmask_b32_e64 v30, v15, v14, s0
	v_sub_nc_u32_e32 v14, 0x3f1, v28
	s_waitcnt lgkmcnt(0)
	v_lshrrev_b32_e32 v27, 16, v29
	v_add_nc_u32_e32 v28, 0xfffffc10, v28
	v_or_b32_e32 v32, 0x1000, v12
	v_and_b32_e32 v31, 7, v30
	v_med3_i32 v33, v14, 0, 13
	v_mul_f16_sdwa v34, v109, v27 dst_sel:DWORD dst_unused:UNUSED_PAD src0_sel:WORD_1 src1_sel:DWORD
	v_add_co_u32 v14, s0, v8, s10
	v_add_co_ci_u32_e64 v15, s0, s11, v9, s0
	v_lshrrev_b32_e32 v36, v33, v32
	v_fmac_f16_e32 v34, v109, v29
	v_cmp_lt_i32_e64 s0, 5, v31
	v_cmp_eq_u32_e64 s1, 3, v31
	v_lshrrev_b32_e32 v30, 2, v30
	v_lshlrev_b32_e32 v31, v33, v36
	v_cvt_f32_f16_e32 v33, v34
	v_mul_f64 v[0:1], v[10:11], s[4:5]
	s_or_b32 s0, s1, s0
	v_mul_f16_sdwa v29, v109, v29 dst_sel:DWORD dst_unused:UNUSED_PAD src0_sel:WORD_1 src1_sel:DWORD
	v_add_co_ci_u32_e64 v30, s0, 0, v30, s0
	v_cmp_ne_u32_e64 s0, v31, v32
	v_cvt_f64_f32_e32 v[10:11], v33
	v_lshl_or_b32 v32, v28, 12, v12
	v_fma_f16 v27, v109, v27, -v29
	v_cndmask_b32_e64 v31, 0, 1, s0
	v_cmp_ne_u32_e64 s0, 0, v6
	v_cvt_f32_f16_e32 v27, v27
	v_or_b32_e32 v31, v36, v31
	v_cndmask_b32_e64 v6, 0, 1, s0
	v_cmp_gt_i32_e64 s0, 31, v25
	v_lshl_or_b32 v6, v6, 9, 0x7c00
	v_cndmask_b32_e64 v29, 0x7c00, v30, s0
	v_cmp_gt_i32_e64 s0, 1, v28
	v_and_or_b32 v0, 0x1ff, v1, v0
	v_cndmask_b32_e64 v30, v32, v31, s0
	v_cmp_eq_u32_e64 s0, 0x40f, v25
	v_mul_f64 v[10:11], v[10:11], s[4:5]
	v_lshrrev_b32_e32 v31, 8, v1
	v_bfe_u32 v32, v1, 20, 11
	v_lshrrev_b32_e32 v1, 16, v1
	v_cndmask_b32_e64 v25, v29, v6, s0
	v_lshrrev_b32_e32 v29, 16, v7
	v_cvt_f64_f32_e32 v[6:7], v27
	v_cmp_ne_u32_e64 s0, 0, v0
	v_and_b32_e32 v27, 7, v30
	v_and_or_b32 v25, 0x8000, v29, v25
	v_and_b32_e32 v29, 0xffff, v35
	v_cndmask_b32_e64 v0, 0, 1, s0
	v_cmp_lt_i32_e64 s0, 5, v27
	v_cmp_eq_u32_e64 s1, 3, v27
	v_lshrrev_b32_e32 v27, 2, v30
	v_lshl_or_b32 v25, v25, 16, v29
	v_and_or_b32 v0, 0xffe, v31, v0
	v_sub_nc_u32_e32 v31, 0x3f1, v32
	s_or_b32 s0, s1, s0
	v_add_co_ci_u32_e64 v27, s0, 0, v27, s0
	v_or_b32_e32 v29, 0x1000, v0
	v_med3_i32 v30, v31, 0, 13
	v_cmp_ne_u32_e64 s0, 0, v12
	v_and_or_b32 v10, 0x1ff, v11, v10
	v_lshrrev_b32_e32 v33, 8, v11
	v_mul_f64 v[6:7], v[6:7], s[4:5]
	v_lshrrev_b32_e32 v31, v30, v29
	v_cndmask_b32_e64 v12, 0, 1, s0
	v_cmp_gt_i32_e64 s0, 31, v28
	v_bfe_u32 v34, v11, 20, 11
	v_lshrrev_b32_e32 v11, 16, v11
	v_lshlrev_b32_e32 v30, v30, v31
	v_lshl_or_b32 v12, v12, 9, 0x7c00
	v_cndmask_b32_e64 v27, 0x7c00, v27, s0
	v_cmp_ne_u32_e64 s0, 0, v10
	v_cndmask_b32_e64 v10, 0, 1, s0
	v_cmp_ne_u32_e64 s0, v30, v29
	v_add_nc_u32_e32 v30, 0xfffffc10, v32
	v_sub_nc_u32_e32 v32, 0x3f1, v34
	v_and_or_b32 v10, 0xffe, v33, v10
	v_cndmask_b32_e64 v29, 0, 1, s0
	v_cmp_eq_u32_e64 s0, 0x40f, v28
	v_lshl_or_b32 v28, v30, 12, v0
	v_and_or_b32 v6, 0x1ff, v7, v6
	v_bfe_u32 v33, v7, 20, 11
	v_cndmask_b32_e64 v12, v27, v12, s0
	v_or_b32_e32 v27, v31, v29
	v_or_b32_e32 v29, 0x1000, v10
	v_med3_i32 v31, v32, 0, 13
	v_cmp_gt_i32_e64 s0, 1, v30
	v_lshrrev_b32_e32 v32, 8, v7
	v_and_or_b32 v12, 0x8000, v13, v12
	v_sub_nc_u32_e32 v13, 0x3f1, v33
	v_cndmask_b32_e64 v27, v28, v27, s0
	v_lshrrev_b32_e32 v28, v31, v29
	v_cmp_ne_u32_e64 s0, 0, v6
	v_med3_i32 v13, v13, 0, 13
	v_and_b32_e32 v35, 7, v27
	v_lshlrev_b32_e32 v31, v31, v28
	v_cndmask_b32_e64 v6, 0, 1, s0
	v_lshrrev_b32_e32 v27, 2, v27
	v_cmp_lt_i32_e64 s0, 5, v35
	v_cmp_ne_u32_e64 s1, v31, v29
	v_and_or_b32 v6, 0xffe, v32, v6
	v_add_nc_u32_e32 v32, 0xfffffc10, v34
	v_cndmask_b32_e64 v29, 0, 1, s1
	v_cmp_eq_u32_e64 s1, 3, v35
	v_or_b32_e32 v31, 0x1000, v6
	v_lshl_or_b32 v34, v32, 12, v10
	v_or_b32_e32 v28, v28, v29
	s_or_b32 s0, s1, s0
	v_lshrrev_b32_e32 v29, v13, v31
	v_add_co_ci_u32_e64 v27, s0, 0, v27, s0
	v_cmp_gt_i32_e64 s0, 1, v32
	v_lshlrev_b32_e32 v13, v13, v29
	v_cndmask_b32_e64 v28, v34, v28, s0
	v_cmp_ne_u32_e64 s0, 0, v0
	v_cndmask_b32_e64 v0, 0, 1, s0
	v_cmp_ne_u32_e64 s0, v13, v31
	v_add_nc_u32_e32 v31, 0xfffffc10, v33
	v_and_b32_e32 v33, 7, v28
	v_lshl_or_b32 v0, v0, 9, 0x7c00
	v_cndmask_b32_e64 v13, 0, 1, s0
	v_cmp_gt_i32_e64 s0, 31, v30
	v_cmp_gt_i32_e64 s2, 1, v31
	v_cmp_eq_u32_e64 s1, 3, v33
	v_or_b32_e32 v13, v29, v13
	v_lshl_or_b32 v29, v31, 12, v6
	v_cndmask_b32_e64 v27, 0x7c00, v27, s0
	v_cmp_lt_i32_e64 s0, 5, v33
	v_cndmask_b32_e64 v13, v29, v13, s2
	v_cmp_eq_u32_e64 s2, 0x40f, v30
	s_or_b32 s0, s1, s0
	v_cndmask_b32_e64 v0, v27, v0, s2
	v_lshrrev_b32_e32 v27, 2, v28
	v_and_b32_e32 v28, 7, v13
	v_lshrrev_b32_e32 v13, 2, v13
	v_cmp_gt_i32_e64 s2, 31, v32
	v_and_or_b32 v0, 0x8000, v1, v0
	v_add_co_ci_u32_e64 v27, s0, 0, v27, s0
	v_cmp_ne_u32_e64 s0, 0, v10
	v_cmp_eq_u32_e64 s1, 3, v28
	v_and_b32_e32 v1, 0xffff, v12
	v_cndmask_b32_e64 v27, 0x7c00, v27, s2
	v_lshrrev_b32_e32 v12, 16, v7
	v_cndmask_b32_e64 v10, 0, 1, s0
	v_cmp_lt_i32_e64 s0, 5, v28
	v_lshl_or_b32 v10, v10, 9, 0x7c00
	s_or_b32 s0, s1, s0
	v_add_co_ci_u32_e64 v13, s0, 0, v13, s0
	v_cmp_ne_u32_e64 s0, 0, v6
	v_cndmask_b32_e64 v6, 0, 1, s0
	v_cmp_eq_u32_e64 s0, 0x40f, v32
	v_lshl_or_b32 v6, v6, 9, 0x7c00
	v_cndmask_b32_e64 v10, v27, v10, s0
	v_cmp_gt_i32_e64 s0, 31, v31
	v_and_or_b32 v10, 0x8000, v11, v10
	v_cndmask_b32_e64 v13, 0x7c00, v13, s0
	v_cmp_eq_u32_e64 s0, 0x40f, v31
	v_cndmask_b32_e64 v11, v13, v6, s0
	v_add_co_u32 v6, s0, v14, s10
	v_add_co_ci_u32_e64 v7, s0, s11, v15, s0
	v_lshl_or_b32 v13, v0, 16, v1
	v_and_or_b32 v0, 0x8000, v12, v11
	v_and_b32_e32 v1, 0xffff, v10
	v_add_co_u32 v10, s0, v6, s10
	v_add_co_ci_u32_e64 v11, s0, s11, v7, s0
	v_lshl_or_b32 v12, v0, 16, v1
	v_add_co_u32 v0, s0, v10, s10
	v_add_co_ci_u32_e64 v1, s0, s11, v11, s0
	global_store_dword v[8:9], v26, off
	global_store_dword v[14:15], v24, off
	;; [unrolled: 1-line block ×5, first 2 shown]
	s_and_b32 exec_lo, exec_lo, vcc_lo
	s_cbranch_execz .LBB0_15
; %bb.14:
	global_load_dword v8, v[22:23], off offset:204
	ds_read2_b32 v[6:7], v107 offset0:51 offset1:150
	v_mad_u64_u32 v[0:1], null, 0xffffe80c, s8, v[0:1]
	s_waitcnt lgkmcnt(0)
	v_lshrrev_b32_e32 v9, 16, v6
	s_waitcnt vmcnt(0)
	v_mul_f16_sdwa v10, v9, v8 dst_sel:DWORD dst_unused:UNUSED_PAD src0_sel:DWORD src1_sel:WORD_1
	v_mul_f16_sdwa v11, v6, v8 dst_sel:DWORD dst_unused:UNUSED_PAD src0_sel:DWORD src1_sel:WORD_1
	v_fmac_f16_e32 v10, v6, v8
	v_fma_f16 v6, v8, v9, -v11
	v_cvt_f32_f16_e32 v8, v10
	v_cvt_f32_f16_e32 v6, v6
	v_cvt_f64_f32_e32 v[8:9], v8
	v_cvt_f64_f32_e32 v[10:11], v6
	v_mul_f64 v[8:9], v[8:9], s[4:5]
	v_mul_f64 v[10:11], v[10:11], s[4:5]
	v_and_or_b32 v6, 0x1ff, v9, v8
	v_and_or_b32 v10, 0x1ff, v11, v10
	v_lshrrev_b32_e32 v8, 8, v9
	v_bfe_u32 v12, v9, 20, 11
	v_lshrrev_b32_e32 v13, 8, v11
	v_cmp_ne_u32_e32 vcc_lo, 0, v6
	v_bfe_u32 v14, v11, 20, 11
	v_lshrrev_b32_e32 v9, 16, v9
	v_sub_nc_u32_e32 v15, 0x3f1, v12
	v_add_nc_u32_e32 v12, 0xfffffc10, v12
	v_cndmask_b32_e64 v6, 0, 1, vcc_lo
	v_cmp_ne_u32_e32 vcc_lo, 0, v10
	v_lshrrev_b32_e32 v11, 16, v11
	v_and_or_b32 v6, 0xffe, v8, v6
	v_cndmask_b32_e64 v10, 0, 1, vcc_lo
	v_sub_nc_u32_e32 v8, 0x3f1, v14
	v_add_nc_u32_e32 v14, 0xfffffc10, v14
	v_and_or_b32 v10, 0xffe, v13, v10
	v_med3_i32 v13, v15, 0, 13
	v_or_b32_e32 v15, 0x1000, v6
	v_med3_i32 v8, v8, 0, 13
	v_or_b32_e32 v24, 0x1000, v10
	v_lshrrev_b32_e32 v25, v13, v15
	v_lshrrev_b32_e32 v26, v8, v24
	v_lshlrev_b32_e32 v13, v13, v25
	v_lshlrev_b32_e32 v8, v8, v26
	v_cmp_ne_u32_e32 vcc_lo, v13, v15
	v_lshl_or_b32 v15, v12, 12, v6
	v_cndmask_b32_e64 v13, 0, 1, vcc_lo
	v_cmp_ne_u32_e32 vcc_lo, v8, v24
	v_lshl_or_b32 v24, v14, 12, v10
	v_or_b32_e32 v13, v25, v13
	v_cndmask_b32_e64 v8, 0, 1, vcc_lo
	v_cmp_gt_i32_e32 vcc_lo, 1, v12
	v_or_b32_e32 v8, v26, v8
	v_cndmask_b32_e32 v13, v15, v13, vcc_lo
	v_cmp_gt_i32_e32 vcc_lo, 1, v14
	v_and_b32_e32 v15, 7, v13
	v_cndmask_b32_e32 v8, v24, v8, vcc_lo
	v_cmp_ne_u32_e32 vcc_lo, 0, v6
	v_lshrrev_b32_e32 v13, 2, v13
	v_cmp_eq_u32_e64 s0, 3, v15
	v_and_b32_e32 v24, 7, v8
	v_cndmask_b32_e64 v6, 0, 1, vcc_lo
	v_cmp_ne_u32_e32 vcc_lo, 0, v10
	v_lshrrev_b32_e32 v8, 2, v8
	v_cmp_lt_i32_e64 s1, 5, v24
	v_cmp_eq_u32_e64 s2, 3, v24
	v_cndmask_b32_e64 v10, 0, 1, vcc_lo
	v_cmp_lt_i32_e32 vcc_lo, 5, v15
	v_lshl_or_b32 v6, v6, 9, 0x7c00
	v_lshl_or_b32 v10, v10, 9, 0x7c00
	s_or_b32 vcc_lo, s0, vcc_lo
	s_mul_i32 s0, s9, 0xffffe80c
	v_add_co_ci_u32_e32 v13, vcc_lo, 0, v13, vcc_lo
	s_or_b32 vcc_lo, s2, s1
	s_sub_i32 s0, s0, s8
	v_add_co_ci_u32_e32 v8, vcc_lo, 0, v8, vcc_lo
	v_cmp_gt_i32_e32 vcc_lo, 31, v12
	v_add_nc_u32_e32 v1, s0, v1
	v_cndmask_b32_e32 v13, 0x7c00, v13, vcc_lo
	v_cmp_gt_i32_e32 vcc_lo, 31, v14
	v_cndmask_b32_e32 v8, 0x7c00, v8, vcc_lo
	v_cmp_eq_u32_e32 vcc_lo, 0x40f, v12
	v_cndmask_b32_e32 v6, v13, v6, vcc_lo
	v_cmp_eq_u32_e32 vcc_lo, 0x40f, v14
	v_and_or_b32 v6, 0x8000, v9, v6
	v_cndmask_b32_e32 v8, v8, v10, vcc_lo
	v_and_b32_e32 v6, 0xffff, v6
	v_and_or_b32 v8, 0x8000, v11, v8
	v_lshl_or_b32 v6, v8, 16, v6
	v_lshrrev_b32_e32 v8, 16, v7
	global_store_dword v[0:1], v6, off
	global_load_dword v6, v[22:23], off offset:600
	s_waitcnt vmcnt(0)
	v_mul_f16_sdwa v9, v8, v6 dst_sel:DWORD dst_unused:UNUSED_PAD src0_sel:DWORD src1_sel:WORD_1
	v_mul_f16_sdwa v10, v7, v6 dst_sel:DWORD dst_unused:UNUSED_PAD src0_sel:DWORD src1_sel:WORD_1
	v_fmac_f16_e32 v9, v7, v6
	v_fma_f16 v6, v6, v8, -v10
	v_cvt_f32_f16_e32 v7, v9
	v_cvt_f32_f16_e32 v8, v6
	v_cvt_f64_f32_e32 v[6:7], v7
	v_cvt_f64_f32_e32 v[8:9], v8
	v_mul_f64 v[6:7], v[6:7], s[4:5]
	v_mul_f64 v[8:9], v[8:9], s[4:5]
	v_and_or_b32 v6, 0x1ff, v7, v6
	v_and_or_b32 v8, 0x1ff, v9, v8
	v_lshrrev_b32_e32 v10, 8, v7
	v_bfe_u32 v11, v7, 20, 11
	v_lshrrev_b32_e32 v12, 8, v9
	v_cmp_ne_u32_e32 vcc_lo, 0, v6
	v_bfe_u32 v13, v9, 20, 11
	v_lshrrev_b32_e32 v7, 16, v7
	v_sub_nc_u32_e32 v14, 0x3f1, v11
	v_add_nc_u32_e32 v11, 0xfffffc10, v11
	v_cndmask_b32_e64 v6, 0, 1, vcc_lo
	v_cmp_ne_u32_e32 vcc_lo, 0, v8
	v_lshrrev_b32_e32 v9, 16, v9
	v_and_or_b32 v6, 0xffe, v10, v6
	v_cndmask_b32_e64 v8, 0, 1, vcc_lo
	v_sub_nc_u32_e32 v10, 0x3f1, v13
	v_add_nc_u32_e32 v13, 0xfffffc10, v13
	v_and_or_b32 v8, 0xffe, v12, v8
	v_med3_i32 v12, v14, 0, 13
	v_or_b32_e32 v14, 0x1000, v6
	v_med3_i32 v10, v10, 0, 13
	v_or_b32_e32 v15, 0x1000, v8
	v_lshrrev_b32_e32 v24, v12, v14
	v_lshrrev_b32_e32 v25, v10, v15
	v_lshlrev_b32_e32 v12, v12, v24
	v_lshlrev_b32_e32 v10, v10, v25
	v_cmp_ne_u32_e32 vcc_lo, v12, v14
	v_lshl_or_b32 v14, v11, 12, v6
	v_cndmask_b32_e64 v12, 0, 1, vcc_lo
	v_cmp_ne_u32_e32 vcc_lo, v10, v15
	v_lshl_or_b32 v15, v13, 12, v8
	v_or_b32_e32 v12, v24, v12
	v_cndmask_b32_e64 v10, 0, 1, vcc_lo
	v_cmp_gt_i32_e32 vcc_lo, 1, v11
	v_or_b32_e32 v10, v25, v10
	v_cndmask_b32_e32 v12, v14, v12, vcc_lo
	v_cmp_gt_i32_e32 vcc_lo, 1, v13
	v_and_b32_e32 v14, 7, v12
	v_cndmask_b32_e32 v10, v15, v10, vcc_lo
	v_cmp_ne_u32_e32 vcc_lo, 0, v6
	v_lshrrev_b32_e32 v12, 2, v12
	v_cmp_eq_u32_e64 s0, 3, v14
	v_and_b32_e32 v15, 7, v10
	v_cndmask_b32_e64 v6, 0, 1, vcc_lo
	v_cmp_ne_u32_e32 vcc_lo, 0, v8
	v_lshrrev_b32_e32 v10, 2, v10
	v_cmp_lt_i32_e64 s1, 5, v15
	v_cmp_eq_u32_e64 s2, 3, v15
	v_cndmask_b32_e64 v8, 0, 1, vcc_lo
	v_cmp_lt_i32_e32 vcc_lo, 5, v14
	v_lshl_or_b32 v6, v6, 9, 0x7c00
	v_lshl_or_b32 v8, v8, 9, 0x7c00
	s_or_b32 vcc_lo, s0, vcc_lo
	v_add_co_ci_u32_e32 v12, vcc_lo, 0, v12, vcc_lo
	s_or_b32 vcc_lo, s2, s1
	v_add_co_ci_u32_e32 v10, vcc_lo, 0, v10, vcc_lo
	v_cmp_gt_i32_e32 vcc_lo, 31, v11
	v_cndmask_b32_e32 v12, 0x7c00, v12, vcc_lo
	v_cmp_gt_i32_e32 vcc_lo, 31, v13
	v_cndmask_b32_e32 v10, 0x7c00, v10, vcc_lo
	v_cmp_eq_u32_e32 vcc_lo, 0x40f, v11
	v_cndmask_b32_e32 v6, v12, v6, vcc_lo
	v_cmp_eq_u32_e32 vcc_lo, 0x40f, v13
	v_and_or_b32 v6, 0x8000, v7, v6
	v_cndmask_b32_e32 v8, v10, v8, vcc_lo
	v_add_co_u32 v0, vcc_lo, v0, s10
	v_add_co_ci_u32_e32 v1, vcc_lo, s11, v1, vcc_lo
	v_and_or_b32 v7, 0x8000, v9, v8
	v_and_b32_e32 v6, 0xffff, v6
	v_lshl_or_b32 v6, v7, 16, v6
	global_store_dword v[0:1], v6, off
	global_load_dword v8, v[22:23], off offset:996
	ds_read2_b32 v[6:7], v4 offset0:121 offset1:220
	s_waitcnt lgkmcnt(0)
	v_lshrrev_b32_e32 v4, 16, v6
	s_waitcnt vmcnt(0)
	v_mul_f16_sdwa v9, v4, v8 dst_sel:DWORD dst_unused:UNUSED_PAD src0_sel:DWORD src1_sel:WORD_1
	v_mul_f16_sdwa v10, v6, v8 dst_sel:DWORD dst_unused:UNUSED_PAD src0_sel:DWORD src1_sel:WORD_1
	v_fmac_f16_e32 v9, v6, v8
	v_fma_f16 v4, v8, v4, -v10
	v_cvt_f32_f16_e32 v6, v9
	v_cvt_f32_f16_e32 v4, v4
	v_cvt_f64_f32_e32 v[8:9], v6
	v_cvt_f64_f32_e32 v[10:11], v4
	v_mul_f64 v[8:9], v[8:9], s[4:5]
	v_mul_f64 v[10:11], v[10:11], s[4:5]
	v_and_or_b32 v4, 0x1ff, v9, v8
	v_and_or_b32 v10, 0x1ff, v11, v10
	v_lshrrev_b32_e32 v6, 8, v9
	v_bfe_u32 v8, v9, 20, 11
	v_lshrrev_b32_e32 v12, 8, v11
	v_cmp_ne_u32_e32 vcc_lo, 0, v4
	v_bfe_u32 v13, v11, 20, 11
	v_lshrrev_b32_e32 v9, 16, v9
	v_sub_nc_u32_e32 v14, 0x3f1, v8
	v_add_nc_u32_e32 v8, 0xfffffc10, v8
	v_cndmask_b32_e64 v4, 0, 1, vcc_lo
	v_cmp_ne_u32_e32 vcc_lo, 0, v10
	v_and_or_b32 v4, 0xffe, v6, v4
	v_cndmask_b32_e64 v10, 0, 1, vcc_lo
	v_sub_nc_u32_e32 v6, 0x3f1, v13
	v_add_nc_u32_e32 v13, 0xfffffc10, v13
	v_and_or_b32 v10, 0xffe, v12, v10
	v_med3_i32 v12, v14, 0, 13
	v_or_b32_e32 v14, 0x1000, v4
	v_med3_i32 v6, v6, 0, 13
	v_or_b32_e32 v15, 0x1000, v10
	v_lshrrev_b32_e32 v24, v12, v14
	v_lshrrev_b32_e32 v25, v6, v15
	v_lshlrev_b32_e32 v12, v12, v24
	v_lshlrev_b32_e32 v6, v6, v25
	v_cmp_ne_u32_e32 vcc_lo, v12, v14
	v_lshl_or_b32 v14, v8, 12, v4
	v_cndmask_b32_e64 v12, 0, 1, vcc_lo
	v_cmp_ne_u32_e32 vcc_lo, v6, v15
	v_lshl_or_b32 v15, v13, 12, v10
	v_or_b32_e32 v12, v24, v12
	v_cndmask_b32_e64 v6, 0, 1, vcc_lo
	v_cmp_gt_i32_e32 vcc_lo, 1, v8
	v_or_b32_e32 v6, v25, v6
	v_cndmask_b32_e32 v12, v14, v12, vcc_lo
	v_cmp_gt_i32_e32 vcc_lo, 1, v13
	v_and_b32_e32 v14, 7, v12
	v_cndmask_b32_e32 v6, v15, v6, vcc_lo
	v_cmp_ne_u32_e32 vcc_lo, 0, v4
	v_lshrrev_b32_e32 v12, 2, v12
	v_cmp_eq_u32_e64 s0, 3, v14
	v_and_b32_e32 v15, 7, v6
	v_cndmask_b32_e64 v4, 0, 1, vcc_lo
	v_cmp_ne_u32_e32 vcc_lo, 0, v10
	v_lshrrev_b32_e32 v6, 2, v6
	v_cmp_lt_i32_e64 s1, 5, v15
	v_cmp_eq_u32_e64 s2, 3, v15
	v_cndmask_b32_e64 v10, 0, 1, vcc_lo
	v_cmp_lt_i32_e32 vcc_lo, 5, v14
	v_lshl_or_b32 v4, v4, 9, 0x7c00
	v_lshl_or_b32 v10, v10, 9, 0x7c00
	s_or_b32 vcc_lo, s0, vcc_lo
	v_add_co_ci_u32_e32 v12, vcc_lo, 0, v12, vcc_lo
	s_or_b32 vcc_lo, s2, s1
	v_add_co_ci_u32_e32 v6, vcc_lo, 0, v6, vcc_lo
	v_cmp_gt_i32_e32 vcc_lo, 31, v8
	v_cndmask_b32_e32 v12, 0x7c00, v12, vcc_lo
	v_cmp_gt_i32_e32 vcc_lo, 31, v13
	v_cndmask_b32_e32 v6, 0x7c00, v6, vcc_lo
	v_cmp_eq_u32_e32 vcc_lo, 0x40f, v8
	v_lshrrev_b32_e32 v8, 16, v11
	v_cndmask_b32_e32 v4, v12, v4, vcc_lo
	v_cmp_eq_u32_e32 vcc_lo, 0x40f, v13
	v_and_or_b32 v4, 0x8000, v9, v4
	v_cndmask_b32_e32 v6, v6, v10, vcc_lo
	v_add_co_u32 v0, vcc_lo, v0, s10
	v_add_co_ci_u32_e32 v1, vcc_lo, s11, v1, vcc_lo
	v_and_or_b32 v6, 0x8000, v8, v6
	v_and_b32_e32 v4, 0xffff, v4
	v_lshl_or_b32 v4, v6, 16, v4
	v_lshrrev_b32_e32 v6, 16, v7
	global_store_dword v[0:1], v4, off
	global_load_dword v4, v[22:23], off offset:1392
	s_waitcnt vmcnt(0)
	v_mul_f16_sdwa v8, v6, v4 dst_sel:DWORD dst_unused:UNUSED_PAD src0_sel:DWORD src1_sel:WORD_1
	v_mul_f16_sdwa v9, v7, v4 dst_sel:DWORD dst_unused:UNUSED_PAD src0_sel:DWORD src1_sel:WORD_1
	v_fmac_f16_e32 v8, v7, v4
	v_fma_f16 v4, v4, v6, -v9
	v_cvt_f32_f16_e32 v6, v8
	v_cvt_f32_f16_e32 v4, v4
	v_cvt_f64_f32_e32 v[6:7], v6
	v_cvt_f64_f32_e32 v[8:9], v4
	v_mul_f64 v[6:7], v[6:7], s[4:5]
	v_mul_f64 v[8:9], v[8:9], s[4:5]
	v_and_or_b32 v4, 0x1ff, v7, v6
	v_and_or_b32 v8, 0x1ff, v9, v8
	v_lshrrev_b32_e32 v6, 8, v7
	v_bfe_u32 v10, v7, 20, 11
	v_lshrrev_b32_e32 v11, 8, v9
	v_cmp_ne_u32_e32 vcc_lo, 0, v4
	v_bfe_u32 v12, v9, 20, 11
	v_lshrrev_b32_e32 v7, 16, v7
	v_sub_nc_u32_e32 v13, 0x3f1, v10
	v_add_nc_u32_e32 v10, 0xfffffc10, v10
	v_cndmask_b32_e64 v4, 0, 1, vcc_lo
	v_cmp_ne_u32_e32 vcc_lo, 0, v8
	v_lshrrev_b32_e32 v9, 16, v9
	v_and_or_b32 v4, 0xffe, v6, v4
	v_cndmask_b32_e64 v8, 0, 1, vcc_lo
	v_sub_nc_u32_e32 v6, 0x3f1, v12
	v_add_nc_u32_e32 v12, 0xfffffc10, v12
	v_and_or_b32 v8, 0xffe, v11, v8
	v_med3_i32 v11, v13, 0, 13
	v_or_b32_e32 v13, 0x1000, v4
	v_med3_i32 v6, v6, 0, 13
	v_or_b32_e32 v14, 0x1000, v8
	v_lshrrev_b32_e32 v15, v11, v13
	v_lshrrev_b32_e32 v24, v6, v14
	v_lshlrev_b32_e32 v11, v11, v15
	v_lshlrev_b32_e32 v6, v6, v24
	v_cmp_ne_u32_e32 vcc_lo, v11, v13
	v_lshl_or_b32 v13, v10, 12, v4
	v_cndmask_b32_e64 v11, 0, 1, vcc_lo
	v_cmp_ne_u32_e32 vcc_lo, v6, v14
	v_lshl_or_b32 v14, v12, 12, v8
	v_or_b32_e32 v11, v15, v11
	v_cndmask_b32_e64 v6, 0, 1, vcc_lo
	v_cmp_gt_i32_e32 vcc_lo, 1, v10
	v_or_b32_e32 v6, v24, v6
	v_cndmask_b32_e32 v11, v13, v11, vcc_lo
	v_cmp_gt_i32_e32 vcc_lo, 1, v12
	v_and_b32_e32 v13, 7, v11
	v_cndmask_b32_e32 v6, v14, v6, vcc_lo
	v_cmp_ne_u32_e32 vcc_lo, 0, v4
	v_lshrrev_b32_e32 v11, 2, v11
	v_cmp_eq_u32_e64 s0, 3, v13
	v_and_b32_e32 v14, 7, v6
	v_cndmask_b32_e64 v4, 0, 1, vcc_lo
	v_cmp_ne_u32_e32 vcc_lo, 0, v8
	v_lshrrev_b32_e32 v6, 2, v6
	v_cmp_lt_i32_e64 s1, 5, v14
	v_cmp_eq_u32_e64 s2, 3, v14
	v_cndmask_b32_e64 v8, 0, 1, vcc_lo
	v_cmp_lt_i32_e32 vcc_lo, 5, v13
	v_lshl_or_b32 v4, v4, 9, 0x7c00
	v_lshl_or_b32 v8, v8, 9, 0x7c00
	s_or_b32 vcc_lo, s0, vcc_lo
	v_add_co_ci_u32_e32 v11, vcc_lo, 0, v11, vcc_lo
	s_or_b32 vcc_lo, s2, s1
	v_add_co_ci_u32_e32 v6, vcc_lo, 0, v6, vcc_lo
	v_cmp_gt_i32_e32 vcc_lo, 31, v10
	v_cndmask_b32_e32 v11, 0x7c00, v11, vcc_lo
	v_cmp_gt_i32_e32 vcc_lo, 31, v12
	v_cndmask_b32_e32 v6, 0x7c00, v6, vcc_lo
	v_cmp_eq_u32_e32 vcc_lo, 0x40f, v10
	v_cndmask_b32_e32 v4, v11, v4, vcc_lo
	v_cmp_eq_u32_e32 vcc_lo, 0x40f, v12
	v_and_or_b32 v4, 0x8000, v7, v4
	v_cndmask_b32_e32 v6, v6, v8, vcc_lo
	v_add_co_u32 v0, vcc_lo, v0, s10
	v_add_co_ci_u32_e32 v1, vcc_lo, s11, v1, vcc_lo
	v_and_or_b32 v6, 0x8000, v9, v6
	v_and_b32_e32 v4, 0xffff, v4
	v_lshl_or_b32 v4, v6, 16, v4
	ds_read2_b32 v[6:7], v89 offset0:63 offset1:162
	global_store_dword v[0:1], v4, off
	global_load_dword v4, v[22:23], off offset:1788
	s_waitcnt lgkmcnt(0)
	v_lshrrev_b32_e32 v8, 16, v6
	s_waitcnt vmcnt(0)
	v_mul_f16_sdwa v9, v8, v4 dst_sel:DWORD dst_unused:UNUSED_PAD src0_sel:DWORD src1_sel:WORD_1
	v_mul_f16_sdwa v10, v6, v4 dst_sel:DWORD dst_unused:UNUSED_PAD src0_sel:DWORD src1_sel:WORD_1
	v_fmac_f16_e32 v9, v6, v4
	v_fma_f16 v4, v4, v8, -v10
	v_cvt_f32_f16_e32 v6, v9
	v_cvt_f32_f16_e32 v4, v4
	v_cvt_f64_f32_e32 v[8:9], v6
	v_cvt_f64_f32_e32 v[10:11], v4
	v_mul_f64 v[8:9], v[8:9], s[4:5]
	v_mul_f64 v[10:11], v[10:11], s[4:5]
	v_and_or_b32 v4, 0x1ff, v9, v8
	v_and_or_b32 v10, 0x1ff, v11, v10
	v_lshrrev_b32_e32 v6, 8, v9
	v_bfe_u32 v8, v9, 20, 11
	v_lshrrev_b32_e32 v12, 8, v11
	v_cmp_ne_u32_e32 vcc_lo, 0, v4
	v_bfe_u32 v13, v11, 20, 11
	v_lshrrev_b32_e32 v9, 16, v9
	v_sub_nc_u32_e32 v14, 0x3f1, v8
	v_add_nc_u32_e32 v8, 0xfffffc10, v8
	v_cndmask_b32_e64 v4, 0, 1, vcc_lo
	v_cmp_ne_u32_e32 vcc_lo, 0, v10
	v_and_or_b32 v4, 0xffe, v6, v4
	v_cndmask_b32_e64 v10, 0, 1, vcc_lo
	v_sub_nc_u32_e32 v6, 0x3f1, v13
	v_add_nc_u32_e32 v13, 0xfffffc10, v13
	v_and_or_b32 v10, 0xffe, v12, v10
	v_med3_i32 v12, v14, 0, 13
	v_or_b32_e32 v14, 0x1000, v4
	v_med3_i32 v6, v6, 0, 13
	v_or_b32_e32 v15, 0x1000, v10
	v_lshrrev_b32_e32 v22, v12, v14
	v_lshrrev_b32_e32 v23, v6, v15
	v_lshlrev_b32_e32 v12, v12, v22
	v_lshlrev_b32_e32 v6, v6, v23
	v_cmp_ne_u32_e32 vcc_lo, v12, v14
	v_lshl_or_b32 v14, v8, 12, v4
	v_cndmask_b32_e64 v12, 0, 1, vcc_lo
	v_cmp_ne_u32_e32 vcc_lo, v6, v15
	v_lshl_or_b32 v15, v13, 12, v10
	v_or_b32_e32 v12, v22, v12
	v_cndmask_b32_e64 v6, 0, 1, vcc_lo
	v_cmp_gt_i32_e32 vcc_lo, 1, v8
	v_or_b32_e32 v6, v23, v6
	v_cndmask_b32_e32 v12, v14, v12, vcc_lo
	v_cmp_gt_i32_e32 vcc_lo, 1, v13
	v_and_b32_e32 v14, 7, v12
	v_cndmask_b32_e32 v6, v15, v6, vcc_lo
	v_cmp_ne_u32_e32 vcc_lo, 0, v4
	v_lshrrev_b32_e32 v12, 2, v12
	v_cmp_eq_u32_e64 s0, 3, v14
	v_and_b32_e32 v15, 7, v6
	v_cndmask_b32_e64 v4, 0, 1, vcc_lo
	v_cmp_ne_u32_e32 vcc_lo, 0, v10
	v_lshrrev_b32_e32 v6, 2, v6
	v_cmp_lt_i32_e64 s1, 5, v15
	v_cmp_eq_u32_e64 s2, 3, v15
	v_cndmask_b32_e64 v10, 0, 1, vcc_lo
	v_cmp_lt_i32_e32 vcc_lo, 5, v14
	v_lshl_or_b32 v4, v4, 9, 0x7c00
	v_lshl_or_b32 v10, v10, 9, 0x7c00
	s_or_b32 vcc_lo, s0, vcc_lo
	v_add_co_ci_u32_e32 v12, vcc_lo, 0, v12, vcc_lo
	s_or_b32 vcc_lo, s2, s1
	v_add_co_ci_u32_e32 v6, vcc_lo, 0, v6, vcc_lo
	v_cmp_gt_i32_e32 vcc_lo, 31, v8
	v_cndmask_b32_e32 v12, 0x7c00, v12, vcc_lo
	v_cmp_gt_i32_e32 vcc_lo, 31, v13
	v_cndmask_b32_e32 v6, 0x7c00, v6, vcc_lo
	v_cmp_eq_u32_e32 vcc_lo, 0x40f, v8
	v_lshrrev_b32_e32 v8, 16, v11
	v_cndmask_b32_e32 v4, v12, v4, vcc_lo
	v_cmp_eq_u32_e32 vcc_lo, 0x40f, v13
	v_and_or_b32 v4, 0x8000, v9, v4
	v_cndmask_b32_e32 v6, v6, v10, vcc_lo
	v_add_co_u32 v0, vcc_lo, v0, s10
	v_add_co_ci_u32_e32 v1, vcc_lo, s11, v1, vcc_lo
	v_and_or_b32 v6, 0x8000, v8, v6
	v_and_b32_e32 v4, 0xffff, v4
	v_lshl_or_b32 v4, v6, 16, v4
	v_lshrrev_b32_e32 v6, 16, v7
	global_store_dword v[0:1], v4, off
	global_load_dword v4, v[20:21], off offset:136
	s_waitcnt vmcnt(0)
	v_mul_f16_sdwa v8, v6, v4 dst_sel:DWORD dst_unused:UNUSED_PAD src0_sel:DWORD src1_sel:WORD_1
	v_mul_f16_sdwa v9, v7, v4 dst_sel:DWORD dst_unused:UNUSED_PAD src0_sel:DWORD src1_sel:WORD_1
	v_fmac_f16_e32 v8, v7, v4
	v_fma_f16 v4, v4, v6, -v9
	v_cvt_f32_f16_e32 v6, v8
	v_cvt_f32_f16_e32 v4, v4
	v_cvt_f64_f32_e32 v[6:7], v6
	v_cvt_f64_f32_e32 v[8:9], v4
	v_mul_f64 v[6:7], v[6:7], s[4:5]
	v_mul_f64 v[8:9], v[8:9], s[4:5]
	v_and_or_b32 v4, 0x1ff, v7, v6
	v_and_or_b32 v8, 0x1ff, v9, v8
	v_lshrrev_b32_e32 v6, 8, v7
	v_bfe_u32 v10, v7, 20, 11
	v_lshrrev_b32_e32 v11, 8, v9
	v_cmp_ne_u32_e32 vcc_lo, 0, v4
	v_bfe_u32 v12, v9, 20, 11
	v_lshrrev_b32_e32 v7, 16, v7
	v_sub_nc_u32_e32 v13, 0x3f1, v10
	v_add_nc_u32_e32 v10, 0xfffffc10, v10
	v_cndmask_b32_e64 v4, 0, 1, vcc_lo
	v_cmp_ne_u32_e32 vcc_lo, 0, v8
	v_lshrrev_b32_e32 v9, 16, v9
	v_and_or_b32 v4, 0xffe, v6, v4
	v_cndmask_b32_e64 v8, 0, 1, vcc_lo
	v_sub_nc_u32_e32 v6, 0x3f1, v12
	v_add_nc_u32_e32 v12, 0xfffffc10, v12
	v_and_or_b32 v8, 0xffe, v11, v8
	v_med3_i32 v11, v13, 0, 13
	v_or_b32_e32 v13, 0x1000, v4
	v_med3_i32 v6, v6, 0, 13
	v_or_b32_e32 v14, 0x1000, v8
	v_lshrrev_b32_e32 v15, v11, v13
	v_lshrrev_b32_e32 v22, v6, v14
	v_lshlrev_b32_e32 v11, v11, v15
	v_lshlrev_b32_e32 v6, v6, v22
	v_cmp_ne_u32_e32 vcc_lo, v11, v13
	v_lshl_or_b32 v13, v10, 12, v4
	v_cndmask_b32_e64 v11, 0, 1, vcc_lo
	v_cmp_ne_u32_e32 vcc_lo, v6, v14
	v_lshl_or_b32 v14, v12, 12, v8
	v_or_b32_e32 v11, v15, v11
	v_cndmask_b32_e64 v6, 0, 1, vcc_lo
	v_cmp_gt_i32_e32 vcc_lo, 1, v10
	v_or_b32_e32 v6, v22, v6
	v_cndmask_b32_e32 v11, v13, v11, vcc_lo
	v_cmp_gt_i32_e32 vcc_lo, 1, v12
	v_and_b32_e32 v13, 7, v11
	v_cndmask_b32_e32 v6, v14, v6, vcc_lo
	v_cmp_ne_u32_e32 vcc_lo, 0, v4
	v_lshrrev_b32_e32 v11, 2, v11
	v_cmp_eq_u32_e64 s0, 3, v13
	v_and_b32_e32 v14, 7, v6
	v_cndmask_b32_e64 v4, 0, 1, vcc_lo
	v_cmp_ne_u32_e32 vcc_lo, 0, v8
	v_lshrrev_b32_e32 v6, 2, v6
	v_cmp_lt_i32_e64 s1, 5, v14
	v_cmp_eq_u32_e64 s2, 3, v14
	v_cndmask_b32_e64 v8, 0, 1, vcc_lo
	v_cmp_lt_i32_e32 vcc_lo, 5, v13
	v_lshl_or_b32 v4, v4, 9, 0x7c00
	v_lshl_or_b32 v8, v8, 9, 0x7c00
	s_or_b32 vcc_lo, s0, vcc_lo
	v_add_co_ci_u32_e32 v11, vcc_lo, 0, v11, vcc_lo
	s_or_b32 vcc_lo, s2, s1
	v_add_co_ci_u32_e32 v6, vcc_lo, 0, v6, vcc_lo
	v_cmp_gt_i32_e32 vcc_lo, 31, v10
	v_cndmask_b32_e32 v11, 0x7c00, v11, vcc_lo
	v_cmp_gt_i32_e32 vcc_lo, 31, v12
	v_cndmask_b32_e32 v6, 0x7c00, v6, vcc_lo
	v_cmp_eq_u32_e32 vcc_lo, 0x40f, v10
	v_cndmask_b32_e32 v4, v11, v4, vcc_lo
	v_cmp_eq_u32_e32 vcc_lo, 0x40f, v12
	v_and_or_b32 v4, 0x8000, v7, v4
	v_cndmask_b32_e32 v6, v6, v8, vcc_lo
	v_add_co_u32 v0, vcc_lo, v0, s10
	v_add_co_ci_u32_e32 v1, vcc_lo, s11, v1, vcc_lo
	v_and_or_b32 v6, 0x8000, v9, v6
	v_and_b32_e32 v4, 0xffff, v4
	v_lshl_or_b32 v4, v6, 16, v4
	ds_read2_b32 v[6:7], v88 offset0:133 offset1:232
	global_store_dword v[0:1], v4, off
	global_load_dword v4, v[20:21], off offset:532
	s_waitcnt lgkmcnt(0)
	v_lshrrev_b32_e32 v8, 16, v6
	s_waitcnt vmcnt(0)
	v_mul_f16_sdwa v9, v8, v4 dst_sel:DWORD dst_unused:UNUSED_PAD src0_sel:DWORD src1_sel:WORD_1
	v_mul_f16_sdwa v10, v6, v4 dst_sel:DWORD dst_unused:UNUSED_PAD src0_sel:DWORD src1_sel:WORD_1
	v_fmac_f16_e32 v9, v6, v4
	v_fma_f16 v4, v4, v8, -v10
	v_cvt_f32_f16_e32 v6, v9
	v_cvt_f32_f16_e32 v4, v4
	v_cvt_f64_f32_e32 v[8:9], v6
	v_cvt_f64_f32_e32 v[10:11], v4
	v_mul_f64 v[8:9], v[8:9], s[4:5]
	v_mul_f64 v[10:11], v[10:11], s[4:5]
	v_and_or_b32 v4, 0x1ff, v9, v8
	v_and_or_b32 v10, 0x1ff, v11, v10
	v_lshrrev_b32_e32 v6, 8, v9
	v_bfe_u32 v8, v9, 20, 11
	v_lshrrev_b32_e32 v12, 8, v11
	v_cmp_ne_u32_e32 vcc_lo, 0, v4
	v_bfe_u32 v13, v11, 20, 11
	v_lshrrev_b32_e32 v9, 16, v9
	v_sub_nc_u32_e32 v14, 0x3f1, v8
	v_add_nc_u32_e32 v8, 0xfffffc10, v8
	v_cndmask_b32_e64 v4, 0, 1, vcc_lo
	v_cmp_ne_u32_e32 vcc_lo, 0, v10
	v_and_or_b32 v4, 0xffe, v6, v4
	v_cndmask_b32_e64 v10, 0, 1, vcc_lo
	v_sub_nc_u32_e32 v6, 0x3f1, v13
	v_add_nc_u32_e32 v13, 0xfffffc10, v13
	v_and_or_b32 v10, 0xffe, v12, v10
	v_med3_i32 v12, v14, 0, 13
	v_or_b32_e32 v14, 0x1000, v4
	v_med3_i32 v6, v6, 0, 13
	v_or_b32_e32 v15, 0x1000, v10
	v_lshrrev_b32_e32 v22, v12, v14
	v_lshrrev_b32_e32 v23, v6, v15
	v_lshlrev_b32_e32 v12, v12, v22
	v_lshlrev_b32_e32 v6, v6, v23
	v_cmp_ne_u32_e32 vcc_lo, v12, v14
	v_lshl_or_b32 v14, v8, 12, v4
	v_cndmask_b32_e64 v12, 0, 1, vcc_lo
	v_cmp_ne_u32_e32 vcc_lo, v6, v15
	v_lshl_or_b32 v15, v13, 12, v10
	v_or_b32_e32 v12, v22, v12
	v_cndmask_b32_e64 v6, 0, 1, vcc_lo
	v_cmp_gt_i32_e32 vcc_lo, 1, v8
	v_or_b32_e32 v6, v23, v6
	v_cndmask_b32_e32 v12, v14, v12, vcc_lo
	v_cmp_gt_i32_e32 vcc_lo, 1, v13
	v_and_b32_e32 v14, 7, v12
	v_cndmask_b32_e32 v6, v15, v6, vcc_lo
	v_cmp_ne_u32_e32 vcc_lo, 0, v4
	v_lshrrev_b32_e32 v12, 2, v12
	v_cmp_eq_u32_e64 s0, 3, v14
	v_and_b32_e32 v15, 7, v6
	v_cndmask_b32_e64 v4, 0, 1, vcc_lo
	v_cmp_ne_u32_e32 vcc_lo, 0, v10
	v_lshrrev_b32_e32 v6, 2, v6
	v_cmp_lt_i32_e64 s1, 5, v15
	v_cmp_eq_u32_e64 s2, 3, v15
	v_cndmask_b32_e64 v10, 0, 1, vcc_lo
	v_cmp_lt_i32_e32 vcc_lo, 5, v14
	v_lshl_or_b32 v4, v4, 9, 0x7c00
	v_lshl_or_b32 v10, v10, 9, 0x7c00
	s_or_b32 vcc_lo, s0, vcc_lo
	v_add_co_ci_u32_e32 v12, vcc_lo, 0, v12, vcc_lo
	s_or_b32 vcc_lo, s2, s1
	v_add_co_ci_u32_e32 v6, vcc_lo, 0, v6, vcc_lo
	v_cmp_gt_i32_e32 vcc_lo, 31, v8
	v_cndmask_b32_e32 v12, 0x7c00, v12, vcc_lo
	v_cmp_gt_i32_e32 vcc_lo, 31, v13
	v_cndmask_b32_e32 v6, 0x7c00, v6, vcc_lo
	v_cmp_eq_u32_e32 vcc_lo, 0x40f, v8
	v_lshrrev_b32_e32 v8, 16, v11
	v_cndmask_b32_e32 v4, v12, v4, vcc_lo
	v_cmp_eq_u32_e32 vcc_lo, 0x40f, v13
	v_and_or_b32 v4, 0x8000, v9, v4
	v_cndmask_b32_e32 v6, v6, v10, vcc_lo
	v_add_co_u32 v0, vcc_lo, v0, s10
	v_add_co_ci_u32_e32 v1, vcc_lo, s11, v1, vcc_lo
	v_and_or_b32 v6, 0x8000, v8, v6
	v_and_b32_e32 v4, 0xffff, v4
	v_lshl_or_b32 v4, v6, 16, v4
	v_lshrrev_b32_e32 v6, 16, v7
	global_store_dword v[0:1], v4, off
	global_load_dword v4, v[20:21], off offset:928
	s_waitcnt vmcnt(0)
	v_mul_f16_sdwa v8, v6, v4 dst_sel:DWORD dst_unused:UNUSED_PAD src0_sel:DWORD src1_sel:WORD_1
	v_mul_f16_sdwa v9, v7, v4 dst_sel:DWORD dst_unused:UNUSED_PAD src0_sel:DWORD src1_sel:WORD_1
	v_fmac_f16_e32 v8, v7, v4
	v_fma_f16 v4, v4, v6, -v9
	v_cvt_f32_f16_e32 v6, v8
	v_cvt_f32_f16_e32 v4, v4
	v_cvt_f64_f32_e32 v[6:7], v6
	v_cvt_f64_f32_e32 v[8:9], v4
	v_mul_f64 v[6:7], v[6:7], s[4:5]
	v_mul_f64 v[8:9], v[8:9], s[4:5]
	v_and_or_b32 v4, 0x1ff, v7, v6
	v_and_or_b32 v8, 0x1ff, v9, v8
	v_lshrrev_b32_e32 v6, 8, v7
	v_bfe_u32 v10, v7, 20, 11
	v_lshrrev_b32_e32 v11, 8, v9
	v_cmp_ne_u32_e32 vcc_lo, 0, v4
	v_bfe_u32 v12, v9, 20, 11
	v_lshrrev_b32_e32 v7, 16, v7
	v_sub_nc_u32_e32 v13, 0x3f1, v10
	v_add_nc_u32_e32 v10, 0xfffffc10, v10
	v_cndmask_b32_e64 v4, 0, 1, vcc_lo
	v_cmp_ne_u32_e32 vcc_lo, 0, v8
	v_lshrrev_b32_e32 v9, 16, v9
	v_and_or_b32 v4, 0xffe, v6, v4
	v_cndmask_b32_e64 v8, 0, 1, vcc_lo
	v_sub_nc_u32_e32 v6, 0x3f1, v12
	v_add_nc_u32_e32 v12, 0xfffffc10, v12
	v_and_or_b32 v8, 0xffe, v11, v8
	v_med3_i32 v11, v13, 0, 13
	v_or_b32_e32 v13, 0x1000, v4
	v_med3_i32 v6, v6, 0, 13
	v_or_b32_e32 v14, 0x1000, v8
	v_lshrrev_b32_e32 v15, v11, v13
	v_lshrrev_b32_e32 v22, v6, v14
	v_lshlrev_b32_e32 v11, v11, v15
	v_lshlrev_b32_e32 v6, v6, v22
	v_cmp_ne_u32_e32 vcc_lo, v11, v13
	v_lshl_or_b32 v13, v10, 12, v4
	v_cndmask_b32_e64 v11, 0, 1, vcc_lo
	v_cmp_ne_u32_e32 vcc_lo, v6, v14
	v_lshl_or_b32 v14, v12, 12, v8
	v_or_b32_e32 v11, v15, v11
	v_cndmask_b32_e64 v6, 0, 1, vcc_lo
	v_cmp_gt_i32_e32 vcc_lo, 1, v10
	v_or_b32_e32 v6, v22, v6
	v_cndmask_b32_e32 v11, v13, v11, vcc_lo
	v_cmp_gt_i32_e32 vcc_lo, 1, v12
	v_and_b32_e32 v13, 7, v11
	v_cndmask_b32_e32 v6, v14, v6, vcc_lo
	v_cmp_ne_u32_e32 vcc_lo, 0, v4
	v_lshrrev_b32_e32 v11, 2, v11
	v_cmp_eq_u32_e64 s0, 3, v13
	v_and_b32_e32 v14, 7, v6
	v_cndmask_b32_e64 v4, 0, 1, vcc_lo
	v_cmp_ne_u32_e32 vcc_lo, 0, v8
	v_lshrrev_b32_e32 v6, 2, v6
	v_cmp_lt_i32_e64 s1, 5, v14
	v_cmp_eq_u32_e64 s2, 3, v14
	v_cndmask_b32_e64 v8, 0, 1, vcc_lo
	v_cmp_lt_i32_e32 vcc_lo, 5, v13
	v_lshl_or_b32 v4, v4, 9, 0x7c00
	v_lshl_or_b32 v8, v8, 9, 0x7c00
	s_or_b32 vcc_lo, s0, vcc_lo
	v_add_co_ci_u32_e32 v11, vcc_lo, 0, v11, vcc_lo
	s_or_b32 vcc_lo, s2, s1
	v_add_co_ci_u32_e32 v6, vcc_lo, 0, v6, vcc_lo
	v_cmp_gt_i32_e32 vcc_lo, 31, v10
	v_cndmask_b32_e32 v11, 0x7c00, v11, vcc_lo
	v_cmp_gt_i32_e32 vcc_lo, 31, v12
	v_cndmask_b32_e32 v6, 0x7c00, v6, vcc_lo
	v_cmp_eq_u32_e32 vcc_lo, 0x40f, v10
	v_cndmask_b32_e32 v4, v11, v4, vcc_lo
	v_cmp_eq_u32_e32 vcc_lo, 0x40f, v12
	v_and_or_b32 v4, 0x8000, v7, v4
	v_cndmask_b32_e32 v6, v6, v8, vcc_lo
	v_add_co_u32 v0, vcc_lo, v0, s10
	v_add_co_ci_u32_e32 v1, vcc_lo, s11, v1, vcc_lo
	v_and_or_b32 v6, 0x8000, v9, v6
	v_and_b32_e32 v4, 0xffff, v4
	v_lshl_or_b32 v4, v6, 16, v4
	ds_read2_b32 v[6:7], v87 offset0:75 offset1:174
	global_store_dword v[0:1], v4, off
	global_load_dword v4, v[20:21], off offset:1324
	s_waitcnt lgkmcnt(0)
	v_lshrrev_b32_e32 v8, 16, v6
	s_waitcnt vmcnt(0)
	v_mul_f16_sdwa v9, v8, v4 dst_sel:DWORD dst_unused:UNUSED_PAD src0_sel:DWORD src1_sel:WORD_1
	v_mul_f16_sdwa v10, v6, v4 dst_sel:DWORD dst_unused:UNUSED_PAD src0_sel:DWORD src1_sel:WORD_1
	v_fmac_f16_e32 v9, v6, v4
	v_fma_f16 v4, v4, v8, -v10
	v_cvt_f32_f16_e32 v6, v9
	v_cvt_f32_f16_e32 v4, v4
	v_cvt_f64_f32_e32 v[8:9], v6
	v_cvt_f64_f32_e32 v[10:11], v4
	v_mul_f64 v[8:9], v[8:9], s[4:5]
	v_mul_f64 v[10:11], v[10:11], s[4:5]
	v_and_or_b32 v4, 0x1ff, v9, v8
	v_and_or_b32 v10, 0x1ff, v11, v10
	v_lshrrev_b32_e32 v6, 8, v9
	v_bfe_u32 v8, v9, 20, 11
	v_lshrrev_b32_e32 v12, 8, v11
	v_cmp_ne_u32_e32 vcc_lo, 0, v4
	v_bfe_u32 v13, v11, 20, 11
	v_lshrrev_b32_e32 v9, 16, v9
	v_sub_nc_u32_e32 v14, 0x3f1, v8
	v_add_nc_u32_e32 v8, 0xfffffc10, v8
	v_cndmask_b32_e64 v4, 0, 1, vcc_lo
	v_cmp_ne_u32_e32 vcc_lo, 0, v10
	v_and_or_b32 v4, 0xffe, v6, v4
	v_cndmask_b32_e64 v10, 0, 1, vcc_lo
	v_sub_nc_u32_e32 v6, 0x3f1, v13
	v_add_nc_u32_e32 v13, 0xfffffc10, v13
	v_and_or_b32 v10, 0xffe, v12, v10
	v_med3_i32 v12, v14, 0, 13
	v_or_b32_e32 v14, 0x1000, v4
	v_med3_i32 v6, v6, 0, 13
	v_or_b32_e32 v15, 0x1000, v10
	v_lshrrev_b32_e32 v22, v12, v14
	v_lshrrev_b32_e32 v23, v6, v15
	v_lshlrev_b32_e32 v12, v12, v22
	v_lshlrev_b32_e32 v6, v6, v23
	v_cmp_ne_u32_e32 vcc_lo, v12, v14
	v_lshl_or_b32 v14, v8, 12, v4
	v_cndmask_b32_e64 v12, 0, 1, vcc_lo
	v_cmp_ne_u32_e32 vcc_lo, v6, v15
	v_lshl_or_b32 v15, v13, 12, v10
	v_or_b32_e32 v12, v22, v12
	v_cndmask_b32_e64 v6, 0, 1, vcc_lo
	v_cmp_gt_i32_e32 vcc_lo, 1, v8
	v_or_b32_e32 v6, v23, v6
	v_cndmask_b32_e32 v12, v14, v12, vcc_lo
	v_cmp_gt_i32_e32 vcc_lo, 1, v13
	v_and_b32_e32 v14, 7, v12
	v_cndmask_b32_e32 v6, v15, v6, vcc_lo
	v_cmp_ne_u32_e32 vcc_lo, 0, v4
	v_lshrrev_b32_e32 v12, 2, v12
	v_cmp_eq_u32_e64 s0, 3, v14
	v_and_b32_e32 v15, 7, v6
	v_cndmask_b32_e64 v4, 0, 1, vcc_lo
	v_cmp_ne_u32_e32 vcc_lo, 0, v10
	v_lshrrev_b32_e32 v6, 2, v6
	v_cmp_lt_i32_e64 s1, 5, v15
	v_cmp_eq_u32_e64 s2, 3, v15
	v_cndmask_b32_e64 v10, 0, 1, vcc_lo
	v_cmp_lt_i32_e32 vcc_lo, 5, v14
	v_lshl_or_b32 v4, v4, 9, 0x7c00
	v_lshl_or_b32 v10, v10, 9, 0x7c00
	s_or_b32 vcc_lo, s0, vcc_lo
	v_add_co_ci_u32_e32 v12, vcc_lo, 0, v12, vcc_lo
	s_or_b32 vcc_lo, s2, s1
	v_add_co_ci_u32_e32 v6, vcc_lo, 0, v6, vcc_lo
	v_cmp_gt_i32_e32 vcc_lo, 31, v8
	v_cndmask_b32_e32 v12, 0x7c00, v12, vcc_lo
	v_cmp_gt_i32_e32 vcc_lo, 31, v13
	v_cndmask_b32_e32 v6, 0x7c00, v6, vcc_lo
	v_cmp_eq_u32_e32 vcc_lo, 0x40f, v8
	v_lshrrev_b32_e32 v8, 16, v11
	v_cndmask_b32_e32 v4, v12, v4, vcc_lo
	v_cmp_eq_u32_e32 vcc_lo, 0x40f, v13
	v_and_or_b32 v4, 0x8000, v9, v4
	v_cndmask_b32_e32 v6, v6, v10, vcc_lo
	v_add_co_u32 v0, vcc_lo, v0, s10
	v_add_co_ci_u32_e32 v1, vcc_lo, s11, v1, vcc_lo
	v_and_or_b32 v6, 0x8000, v8, v6
	v_and_b32_e32 v4, 0xffff, v4
	v_lshl_or_b32 v4, v6, 16, v4
	v_lshrrev_b32_e32 v6, 16, v7
	global_store_dword v[0:1], v4, off
	global_load_dword v4, v[20:21], off offset:1720
	s_waitcnt vmcnt(0)
	v_mul_f16_sdwa v8, v6, v4 dst_sel:DWORD dst_unused:UNUSED_PAD src0_sel:DWORD src1_sel:WORD_1
	v_mul_f16_sdwa v9, v7, v4 dst_sel:DWORD dst_unused:UNUSED_PAD src0_sel:DWORD src1_sel:WORD_1
	v_fmac_f16_e32 v8, v7, v4
	v_fma_f16 v4, v4, v6, -v9
	v_cvt_f32_f16_e32 v6, v8
	v_cvt_f32_f16_e32 v4, v4
	v_cvt_f64_f32_e32 v[6:7], v6
	v_cvt_f64_f32_e32 v[8:9], v4
	v_mul_f64 v[6:7], v[6:7], s[4:5]
	v_mul_f64 v[8:9], v[8:9], s[4:5]
	v_and_or_b32 v4, 0x1ff, v7, v6
	v_and_or_b32 v8, 0x1ff, v9, v8
	v_lshrrev_b32_e32 v6, 8, v7
	v_bfe_u32 v10, v7, 20, 11
	v_lshrrev_b32_e32 v11, 8, v9
	v_cmp_ne_u32_e32 vcc_lo, 0, v4
	v_bfe_u32 v12, v9, 20, 11
	v_lshrrev_b32_e32 v7, 16, v7
	v_sub_nc_u32_e32 v13, 0x3f1, v10
	v_add_nc_u32_e32 v10, 0xfffffc10, v10
	v_cndmask_b32_e64 v4, 0, 1, vcc_lo
	v_cmp_ne_u32_e32 vcc_lo, 0, v8
	v_lshrrev_b32_e32 v9, 16, v9
	v_and_or_b32 v4, 0xffe, v6, v4
	v_cndmask_b32_e64 v8, 0, 1, vcc_lo
	v_sub_nc_u32_e32 v6, 0x3f1, v12
	v_add_nc_u32_e32 v12, 0xfffffc10, v12
	v_and_or_b32 v8, 0xffe, v11, v8
	v_med3_i32 v11, v13, 0, 13
	v_or_b32_e32 v13, 0x1000, v4
	v_med3_i32 v6, v6, 0, 13
	v_or_b32_e32 v14, 0x1000, v8
	v_lshrrev_b32_e32 v15, v11, v13
	v_lshrrev_b32_e32 v20, v6, v14
	v_lshlrev_b32_e32 v11, v11, v15
	v_lshlrev_b32_e32 v6, v6, v20
	v_cmp_ne_u32_e32 vcc_lo, v11, v13
	v_lshl_or_b32 v13, v10, 12, v4
	v_cndmask_b32_e64 v11, 0, 1, vcc_lo
	v_cmp_ne_u32_e32 vcc_lo, v6, v14
	v_lshl_or_b32 v14, v12, 12, v8
	v_or_b32_e32 v11, v15, v11
	v_cndmask_b32_e64 v6, 0, 1, vcc_lo
	v_cmp_gt_i32_e32 vcc_lo, 1, v10
	v_or_b32_e32 v6, v20, v6
	v_cndmask_b32_e32 v11, v13, v11, vcc_lo
	v_cmp_gt_i32_e32 vcc_lo, 1, v12
	v_and_b32_e32 v13, 7, v11
	v_cndmask_b32_e32 v6, v14, v6, vcc_lo
	v_cmp_ne_u32_e32 vcc_lo, 0, v4
	v_lshrrev_b32_e32 v11, 2, v11
	v_cmp_eq_u32_e64 s0, 3, v13
	v_and_b32_e32 v14, 7, v6
	v_cndmask_b32_e64 v4, 0, 1, vcc_lo
	v_cmp_ne_u32_e32 vcc_lo, 0, v8
	v_lshrrev_b32_e32 v6, 2, v6
	v_cmp_lt_i32_e64 s1, 5, v14
	v_cmp_eq_u32_e64 s2, 3, v14
	v_cndmask_b32_e64 v8, 0, 1, vcc_lo
	v_cmp_lt_i32_e32 vcc_lo, 5, v13
	v_lshl_or_b32 v4, v4, 9, 0x7c00
	v_lshl_or_b32 v8, v8, 9, 0x7c00
	s_or_b32 vcc_lo, s0, vcc_lo
	v_add_co_ci_u32_e32 v11, vcc_lo, 0, v11, vcc_lo
	s_or_b32 vcc_lo, s2, s1
	v_add_co_ci_u32_e32 v6, vcc_lo, 0, v6, vcc_lo
	v_cmp_gt_i32_e32 vcc_lo, 31, v10
	v_cndmask_b32_e32 v11, 0x7c00, v11, vcc_lo
	v_cmp_gt_i32_e32 vcc_lo, 31, v12
	v_cndmask_b32_e32 v6, 0x7c00, v6, vcc_lo
	v_cmp_eq_u32_e32 vcc_lo, 0x40f, v10
	v_cndmask_b32_e32 v4, v11, v4, vcc_lo
	v_cmp_eq_u32_e32 vcc_lo, 0x40f, v12
	v_and_or_b32 v4, 0x8000, v7, v4
	v_cndmask_b32_e32 v6, v6, v8, vcc_lo
	v_add_co_u32 v0, vcc_lo, v0, s10
	v_add_co_ci_u32_e32 v1, vcc_lo, s11, v1, vcc_lo
	v_and_or_b32 v6, 0x8000, v9, v6
	v_and_b32_e32 v4, 0xffff, v4
	v_lshl_or_b32 v4, v6, 16, v4
	ds_read2_b32 v[6:7], v86 offset0:17 offset1:116
	global_store_dword v[0:1], v4, off
	global_load_dword v4, v[18:19], off offset:68
	s_waitcnt lgkmcnt(0)
	v_lshrrev_b32_e32 v8, 16, v6
	s_waitcnt vmcnt(0)
	v_mul_f16_sdwa v9, v8, v4 dst_sel:DWORD dst_unused:UNUSED_PAD src0_sel:DWORD src1_sel:WORD_1
	v_mul_f16_sdwa v10, v6, v4 dst_sel:DWORD dst_unused:UNUSED_PAD src0_sel:DWORD src1_sel:WORD_1
	v_fmac_f16_e32 v9, v6, v4
	v_fma_f16 v4, v4, v8, -v10
	v_cvt_f32_f16_e32 v6, v9
	v_cvt_f32_f16_e32 v4, v4
	v_cvt_f64_f32_e32 v[8:9], v6
	v_cvt_f64_f32_e32 v[10:11], v4
	v_mul_f64 v[8:9], v[8:9], s[4:5]
	v_mul_f64 v[10:11], v[10:11], s[4:5]
	v_and_or_b32 v4, 0x1ff, v9, v8
	v_and_or_b32 v10, 0x1ff, v11, v10
	v_lshrrev_b32_e32 v6, 8, v9
	v_bfe_u32 v8, v9, 20, 11
	v_lshrrev_b32_e32 v12, 8, v11
	v_cmp_ne_u32_e32 vcc_lo, 0, v4
	v_bfe_u32 v13, v11, 20, 11
	v_lshrrev_b32_e32 v9, 16, v9
	v_sub_nc_u32_e32 v14, 0x3f1, v8
	v_add_nc_u32_e32 v8, 0xfffffc10, v8
	v_cndmask_b32_e64 v4, 0, 1, vcc_lo
	v_cmp_ne_u32_e32 vcc_lo, 0, v10
	v_and_or_b32 v4, 0xffe, v6, v4
	v_cndmask_b32_e64 v10, 0, 1, vcc_lo
	v_sub_nc_u32_e32 v6, 0x3f1, v13
	v_add_nc_u32_e32 v13, 0xfffffc10, v13
	v_and_or_b32 v10, 0xffe, v12, v10
	v_med3_i32 v12, v14, 0, 13
	v_or_b32_e32 v14, 0x1000, v4
	v_med3_i32 v6, v6, 0, 13
	v_or_b32_e32 v15, 0x1000, v10
	v_lshrrev_b32_e32 v20, v12, v14
	v_lshrrev_b32_e32 v21, v6, v15
	v_lshlrev_b32_e32 v12, v12, v20
	v_lshlrev_b32_e32 v6, v6, v21
	v_cmp_ne_u32_e32 vcc_lo, v12, v14
	v_lshl_or_b32 v14, v8, 12, v4
	v_cndmask_b32_e64 v12, 0, 1, vcc_lo
	v_cmp_ne_u32_e32 vcc_lo, v6, v15
	v_lshl_or_b32 v15, v13, 12, v10
	v_or_b32_e32 v12, v20, v12
	v_cndmask_b32_e64 v6, 0, 1, vcc_lo
	v_cmp_gt_i32_e32 vcc_lo, 1, v8
	v_or_b32_e32 v6, v21, v6
	v_cndmask_b32_e32 v12, v14, v12, vcc_lo
	v_cmp_gt_i32_e32 vcc_lo, 1, v13
	v_and_b32_e32 v14, 7, v12
	v_cndmask_b32_e32 v6, v15, v6, vcc_lo
	v_cmp_ne_u32_e32 vcc_lo, 0, v4
	v_lshrrev_b32_e32 v12, 2, v12
	v_cmp_eq_u32_e64 s0, 3, v14
	v_and_b32_e32 v15, 7, v6
	v_cndmask_b32_e64 v4, 0, 1, vcc_lo
	v_cmp_ne_u32_e32 vcc_lo, 0, v10
	v_lshrrev_b32_e32 v6, 2, v6
	v_cmp_lt_i32_e64 s1, 5, v15
	v_cmp_eq_u32_e64 s2, 3, v15
	v_cndmask_b32_e64 v10, 0, 1, vcc_lo
	v_cmp_lt_i32_e32 vcc_lo, 5, v14
	v_lshl_or_b32 v4, v4, 9, 0x7c00
	v_lshl_or_b32 v10, v10, 9, 0x7c00
	s_or_b32 vcc_lo, s0, vcc_lo
	v_add_co_ci_u32_e32 v12, vcc_lo, 0, v12, vcc_lo
	s_or_b32 vcc_lo, s2, s1
	v_add_co_ci_u32_e32 v6, vcc_lo, 0, v6, vcc_lo
	v_cmp_gt_i32_e32 vcc_lo, 31, v8
	v_cndmask_b32_e32 v12, 0x7c00, v12, vcc_lo
	v_cmp_gt_i32_e32 vcc_lo, 31, v13
	v_cndmask_b32_e32 v6, 0x7c00, v6, vcc_lo
	v_cmp_eq_u32_e32 vcc_lo, 0x40f, v8
	v_lshrrev_b32_e32 v8, 16, v11
	v_cndmask_b32_e32 v4, v12, v4, vcc_lo
	v_cmp_eq_u32_e32 vcc_lo, 0x40f, v13
	v_and_or_b32 v4, 0x8000, v9, v4
	v_cndmask_b32_e32 v6, v6, v10, vcc_lo
	v_add_co_u32 v0, vcc_lo, v0, s10
	v_add_co_ci_u32_e32 v1, vcc_lo, s11, v1, vcc_lo
	v_and_or_b32 v6, 0x8000, v8, v6
	v_and_b32_e32 v4, 0xffff, v4
	v_lshl_or_b32 v4, v6, 16, v4
	v_lshrrev_b32_e32 v6, 16, v7
	global_store_dword v[0:1], v4, off
	global_load_dword v4, v[18:19], off offset:464
	s_waitcnt vmcnt(0)
	v_mul_f16_sdwa v8, v6, v4 dst_sel:DWORD dst_unused:UNUSED_PAD src0_sel:DWORD src1_sel:WORD_1
	v_mul_f16_sdwa v9, v7, v4 dst_sel:DWORD dst_unused:UNUSED_PAD src0_sel:DWORD src1_sel:WORD_1
	v_fmac_f16_e32 v8, v7, v4
	v_fma_f16 v4, v4, v6, -v9
	v_cvt_f32_f16_e32 v6, v8
	v_cvt_f32_f16_e32 v4, v4
	v_cvt_f64_f32_e32 v[6:7], v6
	v_cvt_f64_f32_e32 v[8:9], v4
	v_mul_f64 v[6:7], v[6:7], s[4:5]
	v_mul_f64 v[8:9], v[8:9], s[4:5]
	v_and_or_b32 v4, 0x1ff, v7, v6
	v_and_or_b32 v8, 0x1ff, v9, v8
	v_lshrrev_b32_e32 v6, 8, v7
	v_bfe_u32 v10, v7, 20, 11
	v_lshrrev_b32_e32 v11, 8, v9
	v_cmp_ne_u32_e32 vcc_lo, 0, v4
	v_bfe_u32 v12, v9, 20, 11
	v_lshrrev_b32_e32 v7, 16, v7
	v_sub_nc_u32_e32 v13, 0x3f1, v10
	v_add_nc_u32_e32 v10, 0xfffffc10, v10
	v_cndmask_b32_e64 v4, 0, 1, vcc_lo
	v_cmp_ne_u32_e32 vcc_lo, 0, v8
	v_lshrrev_b32_e32 v9, 16, v9
	v_and_or_b32 v4, 0xffe, v6, v4
	v_cndmask_b32_e64 v8, 0, 1, vcc_lo
	v_sub_nc_u32_e32 v6, 0x3f1, v12
	v_add_nc_u32_e32 v12, 0xfffffc10, v12
	v_and_or_b32 v8, 0xffe, v11, v8
	v_med3_i32 v11, v13, 0, 13
	v_or_b32_e32 v13, 0x1000, v4
	v_med3_i32 v6, v6, 0, 13
	v_or_b32_e32 v14, 0x1000, v8
	v_lshrrev_b32_e32 v15, v11, v13
	v_lshrrev_b32_e32 v20, v6, v14
	v_lshlrev_b32_e32 v11, v11, v15
	v_lshlrev_b32_e32 v6, v6, v20
	v_cmp_ne_u32_e32 vcc_lo, v11, v13
	v_lshl_or_b32 v13, v10, 12, v4
	v_cndmask_b32_e64 v11, 0, 1, vcc_lo
	v_cmp_ne_u32_e32 vcc_lo, v6, v14
	v_lshl_or_b32 v14, v12, 12, v8
	v_or_b32_e32 v11, v15, v11
	v_cndmask_b32_e64 v6, 0, 1, vcc_lo
	v_cmp_gt_i32_e32 vcc_lo, 1, v10
	v_or_b32_e32 v6, v20, v6
	v_cndmask_b32_e32 v11, v13, v11, vcc_lo
	v_cmp_gt_i32_e32 vcc_lo, 1, v12
	v_and_b32_e32 v13, 7, v11
	v_cndmask_b32_e32 v6, v14, v6, vcc_lo
	v_cmp_ne_u32_e32 vcc_lo, 0, v4
	v_lshrrev_b32_e32 v11, 2, v11
	v_cmp_eq_u32_e64 s0, 3, v13
	v_and_b32_e32 v14, 7, v6
	v_cndmask_b32_e64 v4, 0, 1, vcc_lo
	v_cmp_ne_u32_e32 vcc_lo, 0, v8
	v_lshrrev_b32_e32 v6, 2, v6
	v_cmp_lt_i32_e64 s1, 5, v14
	v_cmp_eq_u32_e64 s2, 3, v14
	v_cndmask_b32_e64 v8, 0, 1, vcc_lo
	v_cmp_lt_i32_e32 vcc_lo, 5, v13
	v_lshl_or_b32 v4, v4, 9, 0x7c00
	v_lshl_or_b32 v8, v8, 9, 0x7c00
	s_or_b32 vcc_lo, s0, vcc_lo
	v_add_co_ci_u32_e32 v11, vcc_lo, 0, v11, vcc_lo
	s_or_b32 vcc_lo, s2, s1
	v_add_co_ci_u32_e32 v6, vcc_lo, 0, v6, vcc_lo
	v_cmp_gt_i32_e32 vcc_lo, 31, v10
	v_cndmask_b32_e32 v11, 0x7c00, v11, vcc_lo
	v_cmp_gt_i32_e32 vcc_lo, 31, v12
	v_cndmask_b32_e32 v6, 0x7c00, v6, vcc_lo
	v_cmp_eq_u32_e32 vcc_lo, 0x40f, v10
	v_cndmask_b32_e32 v4, v11, v4, vcc_lo
	v_cmp_eq_u32_e32 vcc_lo, 0x40f, v12
	v_and_or_b32 v4, 0x8000, v7, v4
	v_cndmask_b32_e32 v6, v6, v8, vcc_lo
	v_add_co_u32 v0, vcc_lo, v0, s10
	v_add_co_ci_u32_e32 v1, vcc_lo, s11, v1, vcc_lo
	v_and_or_b32 v6, 0x8000, v9, v6
	v_and_b32_e32 v4, 0xffff, v4
	v_lshl_or_b32 v4, v6, 16, v4
	global_store_dword v[0:1], v4, off
	global_load_dword v6, v[18:19], off offset:860
	ds_read2_b32 v[4:5], v5 offset0:87 offset1:186
	s_waitcnt lgkmcnt(0)
	v_lshrrev_b32_e32 v7, 16, v4
	s_waitcnt vmcnt(0)
	v_mul_f16_sdwa v8, v7, v6 dst_sel:DWORD dst_unused:UNUSED_PAD src0_sel:DWORD src1_sel:WORD_1
	v_mul_f16_sdwa v9, v4, v6 dst_sel:DWORD dst_unused:UNUSED_PAD src0_sel:DWORD src1_sel:WORD_1
	v_fmac_f16_e32 v8, v4, v6
	v_fma_f16 v4, v6, v7, -v9
	v_cvt_f32_f16_e32 v6, v8
	v_cvt_f32_f16_e32 v4, v4
	v_cvt_f64_f32_e32 v[6:7], v6
	v_cvt_f64_f32_e32 v[8:9], v4
	v_mul_f64 v[6:7], v[6:7], s[4:5]
	v_mul_f64 v[8:9], v[8:9], s[4:5]
	v_and_or_b32 v4, 0x1ff, v7, v6
	v_and_or_b32 v8, 0x1ff, v9, v8
	v_lshrrev_b32_e32 v6, 8, v7
	v_bfe_u32 v10, v7, 20, 11
	v_lshrrev_b32_e32 v11, 8, v9
	v_cmp_ne_u32_e32 vcc_lo, 0, v4
	v_bfe_u32 v12, v9, 20, 11
	v_lshrrev_b32_e32 v7, 16, v7
	v_sub_nc_u32_e32 v13, 0x3f1, v10
	v_add_nc_u32_e32 v10, 0xfffffc10, v10
	v_cndmask_b32_e64 v4, 0, 1, vcc_lo
	v_cmp_ne_u32_e32 vcc_lo, 0, v8
	v_lshrrev_b32_e32 v9, 16, v9
	v_and_or_b32 v4, 0xffe, v6, v4
	v_cndmask_b32_e64 v8, 0, 1, vcc_lo
	v_sub_nc_u32_e32 v6, 0x3f1, v12
	v_add_nc_u32_e32 v12, 0xfffffc10, v12
	v_and_or_b32 v8, 0xffe, v11, v8
	v_med3_i32 v11, v13, 0, 13
	v_or_b32_e32 v13, 0x1000, v4
	v_med3_i32 v6, v6, 0, 13
	v_or_b32_e32 v14, 0x1000, v8
	v_lshrrev_b32_e32 v15, v11, v13
	v_lshrrev_b32_e32 v20, v6, v14
	v_lshlrev_b32_e32 v11, v11, v15
	v_lshlrev_b32_e32 v6, v6, v20
	v_cmp_ne_u32_e32 vcc_lo, v11, v13
	v_lshl_or_b32 v13, v10, 12, v4
	v_cndmask_b32_e64 v11, 0, 1, vcc_lo
	v_cmp_ne_u32_e32 vcc_lo, v6, v14
	v_lshl_or_b32 v14, v12, 12, v8
	v_or_b32_e32 v11, v15, v11
	v_cndmask_b32_e64 v6, 0, 1, vcc_lo
	v_cmp_gt_i32_e32 vcc_lo, 1, v10
	v_or_b32_e32 v6, v20, v6
	v_cndmask_b32_e32 v11, v13, v11, vcc_lo
	v_cmp_gt_i32_e32 vcc_lo, 1, v12
	v_and_b32_e32 v13, 7, v11
	v_cndmask_b32_e32 v6, v14, v6, vcc_lo
	v_cmp_ne_u32_e32 vcc_lo, 0, v4
	v_lshrrev_b32_e32 v11, 2, v11
	v_cmp_eq_u32_e64 s0, 3, v13
	v_and_b32_e32 v14, 7, v6
	v_cndmask_b32_e64 v4, 0, 1, vcc_lo
	v_cmp_ne_u32_e32 vcc_lo, 0, v8
	v_lshrrev_b32_e32 v6, 2, v6
	v_cmp_lt_i32_e64 s1, 5, v14
	v_cmp_eq_u32_e64 s2, 3, v14
	v_cndmask_b32_e64 v8, 0, 1, vcc_lo
	v_cmp_lt_i32_e32 vcc_lo, 5, v13
	v_lshl_or_b32 v4, v4, 9, 0x7c00
	v_lshl_or_b32 v8, v8, 9, 0x7c00
	s_or_b32 vcc_lo, s0, vcc_lo
	v_add_co_ci_u32_e32 v11, vcc_lo, 0, v11, vcc_lo
	s_or_b32 vcc_lo, s2, s1
	v_add_co_ci_u32_e32 v6, vcc_lo, 0, v6, vcc_lo
	v_cmp_gt_i32_e32 vcc_lo, 31, v10
	v_cndmask_b32_e32 v11, 0x7c00, v11, vcc_lo
	v_cmp_gt_i32_e32 vcc_lo, 31, v12
	v_cndmask_b32_e32 v6, 0x7c00, v6, vcc_lo
	v_cmp_eq_u32_e32 vcc_lo, 0x40f, v10
	v_cndmask_b32_e32 v4, v11, v4, vcc_lo
	v_cmp_eq_u32_e32 vcc_lo, 0x40f, v12
	v_and_or_b32 v4, 0x8000, v7, v4
	v_cndmask_b32_e32 v6, v6, v8, vcc_lo
	v_add_co_u32 v0, vcc_lo, v0, s10
	v_add_co_ci_u32_e32 v1, vcc_lo, s11, v1, vcc_lo
	v_and_or_b32 v6, 0x8000, v9, v6
	v_and_b32_e32 v4, 0xffff, v4
	v_lshl_or_b32 v4, v6, 16, v4
	v_lshrrev_b32_e32 v6, 16, v5
	global_store_dword v[0:1], v4, off
	global_load_dword v4, v[18:19], off offset:1256
	s_waitcnt vmcnt(0)
	v_mul_f16_sdwa v7, v6, v4 dst_sel:DWORD dst_unused:UNUSED_PAD src0_sel:DWORD src1_sel:WORD_1
	v_mul_f16_sdwa v8, v5, v4 dst_sel:DWORD dst_unused:UNUSED_PAD src0_sel:DWORD src1_sel:WORD_1
	v_fmac_f16_e32 v7, v5, v4
	v_fma_f16 v4, v4, v6, -v8
	v_cvt_f32_f16_e32 v5, v7
	v_cvt_f32_f16_e32 v6, v4
	v_cvt_f64_f32_e32 v[4:5], v5
	v_cvt_f64_f32_e32 v[6:7], v6
	v_mul_f64 v[4:5], v[4:5], s[4:5]
	v_mul_f64 v[6:7], v[6:7], s[4:5]
	v_and_or_b32 v4, 0x1ff, v5, v4
	v_and_or_b32 v6, 0x1ff, v7, v6
	v_lshrrev_b32_e32 v8, 8, v5
	v_bfe_u32 v9, v5, 20, 11
	v_lshrrev_b32_e32 v10, 8, v7
	v_cmp_ne_u32_e32 vcc_lo, 0, v4
	v_bfe_u32 v11, v7, 20, 11
	v_lshrrev_b32_e32 v5, 16, v5
	v_sub_nc_u32_e32 v12, 0x3f1, v9
	v_add_nc_u32_e32 v9, 0xfffffc10, v9
	v_cndmask_b32_e64 v4, 0, 1, vcc_lo
	v_cmp_ne_u32_e32 vcc_lo, 0, v6
	v_lshrrev_b32_e32 v7, 16, v7
	v_and_or_b32 v4, 0xffe, v8, v4
	v_cndmask_b32_e64 v6, 0, 1, vcc_lo
	v_sub_nc_u32_e32 v8, 0x3f1, v11
	v_add_nc_u32_e32 v11, 0xfffffc10, v11
	v_and_or_b32 v6, 0xffe, v10, v6
	v_med3_i32 v10, v12, 0, 13
	v_or_b32_e32 v12, 0x1000, v4
	v_med3_i32 v8, v8, 0, 13
	v_or_b32_e32 v13, 0x1000, v6
	v_lshrrev_b32_e32 v14, v10, v12
	v_lshrrev_b32_e32 v15, v8, v13
	v_lshlrev_b32_e32 v10, v10, v14
	v_lshlrev_b32_e32 v8, v8, v15
	v_cmp_ne_u32_e32 vcc_lo, v10, v12
	v_lshl_or_b32 v12, v9, 12, v4
	v_cndmask_b32_e64 v10, 0, 1, vcc_lo
	v_cmp_ne_u32_e32 vcc_lo, v8, v13
	v_lshl_or_b32 v13, v11, 12, v6
	v_or_b32_e32 v10, v14, v10
	v_cndmask_b32_e64 v8, 0, 1, vcc_lo
	v_cmp_gt_i32_e32 vcc_lo, 1, v9
	v_or_b32_e32 v8, v15, v8
	v_cndmask_b32_e32 v10, v12, v10, vcc_lo
	v_cmp_gt_i32_e32 vcc_lo, 1, v11
	v_and_b32_e32 v12, 7, v10
	v_cndmask_b32_e32 v8, v13, v8, vcc_lo
	v_cmp_ne_u32_e32 vcc_lo, 0, v4
	v_lshrrev_b32_e32 v10, 2, v10
	v_cmp_eq_u32_e64 s0, 3, v12
	v_and_b32_e32 v13, 7, v8
	v_cndmask_b32_e64 v4, 0, 1, vcc_lo
	v_cmp_ne_u32_e32 vcc_lo, 0, v6
	v_lshrrev_b32_e32 v8, 2, v8
	v_cmp_lt_i32_e64 s1, 5, v13
	v_cmp_eq_u32_e64 s2, 3, v13
	v_cndmask_b32_e64 v6, 0, 1, vcc_lo
	v_cmp_lt_i32_e32 vcc_lo, 5, v12
	v_lshl_or_b32 v4, v4, 9, 0x7c00
	v_lshl_or_b32 v6, v6, 9, 0x7c00
	s_or_b32 vcc_lo, s0, vcc_lo
	v_add_co_ci_u32_e32 v10, vcc_lo, 0, v10, vcc_lo
	s_or_b32 vcc_lo, s2, s1
	v_add_co_ci_u32_e32 v8, vcc_lo, 0, v8, vcc_lo
	v_cmp_gt_i32_e32 vcc_lo, 31, v9
	v_cndmask_b32_e32 v10, 0x7c00, v10, vcc_lo
	v_cmp_gt_i32_e32 vcc_lo, 31, v11
	v_cndmask_b32_e32 v8, 0x7c00, v8, vcc_lo
	v_cmp_eq_u32_e32 vcc_lo, 0x40f, v9
	v_cndmask_b32_e32 v4, v10, v4, vcc_lo
	v_cmp_eq_u32_e32 vcc_lo, 0x40f, v11
	v_and_or_b32 v4, 0x8000, v5, v4
	v_cndmask_b32_e32 v6, v8, v6, vcc_lo
	v_add_co_u32 v0, vcc_lo, v0, s10
	v_add_co_ci_u32_e32 v1, vcc_lo, s11, v1, vcc_lo
	v_and_or_b32 v5, 0x8000, v7, v6
	v_and_b32_e32 v4, 0xffff, v4
	v_lshl_or_b32 v4, v5, 16, v4
	global_store_dword v[0:1], v4, off
	global_load_dword v6, v[18:19], off offset:1652
	ds_read2_b32 v[4:5], v85 offset0:29 offset1:128
	s_waitcnt lgkmcnt(0)
	v_lshrrev_b32_e32 v7, 16, v4
	s_waitcnt vmcnt(0)
	v_mul_f16_sdwa v8, v7, v6 dst_sel:DWORD dst_unused:UNUSED_PAD src0_sel:DWORD src1_sel:WORD_1
	v_mul_f16_sdwa v9, v4, v6 dst_sel:DWORD dst_unused:UNUSED_PAD src0_sel:DWORD src1_sel:WORD_1
	v_fmac_f16_e32 v8, v4, v6
	v_fma_f16 v4, v6, v7, -v9
	v_cvt_f32_f16_e32 v6, v8
	v_cvt_f32_f16_e32 v4, v4
	v_cvt_f64_f32_e32 v[6:7], v6
	v_cvt_f64_f32_e32 v[8:9], v4
	v_mul_f64 v[6:7], v[6:7], s[4:5]
	v_mul_f64 v[8:9], v[8:9], s[4:5]
	v_and_or_b32 v4, 0x1ff, v7, v6
	v_and_or_b32 v8, 0x1ff, v9, v8
	v_lshrrev_b32_e32 v6, 8, v7
	v_bfe_u32 v10, v7, 20, 11
	v_lshrrev_b32_e32 v11, 8, v9
	v_cmp_ne_u32_e32 vcc_lo, 0, v4
	v_bfe_u32 v12, v9, 20, 11
	v_lshrrev_b32_e32 v7, 16, v7
	v_sub_nc_u32_e32 v13, 0x3f1, v10
	v_add_nc_u32_e32 v10, 0xfffffc10, v10
	v_cndmask_b32_e64 v4, 0, 1, vcc_lo
	v_cmp_ne_u32_e32 vcc_lo, 0, v8
	v_lshrrev_b32_e32 v9, 16, v9
	v_and_or_b32 v4, 0xffe, v6, v4
	v_cndmask_b32_e64 v8, 0, 1, vcc_lo
	v_sub_nc_u32_e32 v6, 0x3f1, v12
	v_add_nc_u32_e32 v12, 0xfffffc10, v12
	v_and_or_b32 v8, 0xffe, v11, v8
	v_med3_i32 v11, v13, 0, 13
	v_or_b32_e32 v13, 0x1000, v4
	v_med3_i32 v6, v6, 0, 13
	v_or_b32_e32 v14, 0x1000, v8
	v_lshrrev_b32_e32 v15, v11, v13
	v_lshrrev_b32_e32 v18, v6, v14
	v_lshlrev_b32_e32 v11, v11, v15
	v_lshlrev_b32_e32 v6, v6, v18
	v_cmp_ne_u32_e32 vcc_lo, v11, v13
	v_lshl_or_b32 v13, v10, 12, v4
	v_cndmask_b32_e64 v11, 0, 1, vcc_lo
	v_cmp_ne_u32_e32 vcc_lo, v6, v14
	v_lshl_or_b32 v14, v12, 12, v8
	v_or_b32_e32 v11, v15, v11
	v_cndmask_b32_e64 v6, 0, 1, vcc_lo
	v_cmp_gt_i32_e32 vcc_lo, 1, v10
	v_or_b32_e32 v6, v18, v6
	v_cndmask_b32_e32 v11, v13, v11, vcc_lo
	v_cmp_gt_i32_e32 vcc_lo, 1, v12
	v_and_b32_e32 v13, 7, v11
	v_cndmask_b32_e32 v6, v14, v6, vcc_lo
	v_cmp_ne_u32_e32 vcc_lo, 0, v4
	v_lshrrev_b32_e32 v11, 2, v11
	v_cmp_eq_u32_e64 s0, 3, v13
	v_and_b32_e32 v14, 7, v6
	v_cndmask_b32_e64 v4, 0, 1, vcc_lo
	v_cmp_ne_u32_e32 vcc_lo, 0, v8
	v_lshrrev_b32_e32 v6, 2, v6
	v_cmp_lt_i32_e64 s1, 5, v14
	v_cmp_eq_u32_e64 s2, 3, v14
	v_cndmask_b32_e64 v8, 0, 1, vcc_lo
	v_cmp_lt_i32_e32 vcc_lo, 5, v13
	v_lshl_or_b32 v4, v4, 9, 0x7c00
	v_lshl_or_b32 v8, v8, 9, 0x7c00
	s_or_b32 vcc_lo, s0, vcc_lo
	v_add_co_ci_u32_e32 v11, vcc_lo, 0, v11, vcc_lo
	s_or_b32 vcc_lo, s2, s1
	v_add_co_ci_u32_e32 v6, vcc_lo, 0, v6, vcc_lo
	v_cmp_gt_i32_e32 vcc_lo, 31, v10
	v_cndmask_b32_e32 v11, 0x7c00, v11, vcc_lo
	v_cmp_gt_i32_e32 vcc_lo, 31, v12
	v_cndmask_b32_e32 v6, 0x7c00, v6, vcc_lo
	v_cmp_eq_u32_e32 vcc_lo, 0x40f, v10
	v_cndmask_b32_e32 v4, v11, v4, vcc_lo
	v_cmp_eq_u32_e32 vcc_lo, 0x40f, v12
	v_and_or_b32 v4, 0x8000, v7, v4
	v_cndmask_b32_e32 v6, v6, v8, vcc_lo
	v_add_co_u32 v0, vcc_lo, v0, s10
	v_add_co_ci_u32_e32 v1, vcc_lo, s11, v1, vcc_lo
	v_and_or_b32 v6, 0x8000, v9, v6
	v_and_b32_e32 v4, 0xffff, v4
	v_lshl_or_b32 v4, v6, 16, v4
	v_lshlrev_b32_e32 v6, 2, v108
	global_store_dword v[0:1], v4, off
	global_load_dword v4, v6, s[6:7]
	v_lshrrev_b32_e32 v6, 16, v5
	v_mad_u64_u32 v[0:1], null, 0x318, s8, v[0:1]
	s_waitcnt vmcnt(0)
	v_mul_f16_sdwa v7, v6, v4 dst_sel:DWORD dst_unused:UNUSED_PAD src0_sel:DWORD src1_sel:WORD_1
	v_mul_f16_sdwa v8, v5, v4 dst_sel:DWORD dst_unused:UNUSED_PAD src0_sel:DWORD src1_sel:WORD_1
	v_fmac_f16_e32 v7, v5, v4
	v_fma_f16 v4, v4, v6, -v8
	v_cvt_f32_f16_e32 v5, v7
	v_cvt_f32_f16_e32 v6, v4
	v_cvt_f64_f32_e32 v[4:5], v5
	v_cvt_f64_f32_e32 v[6:7], v6
	v_mul_f64 v[4:5], v[4:5], s[4:5]
	v_mul_f64 v[6:7], v[6:7], s[4:5]
	v_and_or_b32 v4, 0x1ff, v5, v4
	v_and_or_b32 v6, 0x1ff, v7, v6
	v_lshrrev_b32_e32 v8, 8, v5
	v_bfe_u32 v10, v5, 20, 11
	v_bfe_u32 v11, v7, 20, 11
	v_cmp_ne_u32_e32 vcc_lo, 0, v4
	v_lshrrev_b32_e32 v9, 8, v7
	v_lshrrev_b32_e32 v7, 16, v7
	v_sub_nc_u32_e32 v12, 0x3f1, v10
	v_sub_nc_u32_e32 v13, 0x3f1, v11
	v_cndmask_b32_e64 v4, 0, 1, vcc_lo
	v_cmp_ne_u32_e32 vcc_lo, 0, v6
	v_add_nc_u32_e32 v11, 0xfffffc10, v11
	v_and_or_b32 v14, 0xffe, v8, v4
	v_cndmask_b32_e64 v6, 0, 1, vcc_lo
	v_med3_i32 v4, v12, 0, 13
	v_med3_i32 v12, v13, 0, 13
	v_or_b32_e32 v13, 0x1000, v14
	v_and_or_b32 v6, 0xffe, v9, v6
	v_mad_u64_u32 v[8:9], null, s8, v108, 0
	v_lshrrev_b32_e32 v18, v4, v13
	v_or_b32_e32 v15, 0x1000, v6
	v_lshlrev_b32_e32 v20, v4, v18
	v_lshrrev_b32_e32 v19, v12, v15
	v_mov_b32_e32 v4, v9
	v_cmp_ne_u32_e32 vcc_lo, v20, v13
	v_lshlrev_b32_e32 v9, v12, v19
	v_add_nc_u32_e32 v12, 0xfffffc10, v10
	v_cndmask_b32_e64 v13, 0, 1, vcc_lo
	v_cmp_ne_u32_e32 vcc_lo, v9, v15
	v_mad_u64_u32 v[9:10], null, s9, v108, v[4:5]
	v_lshl_or_b32 v4, v12, 12, v14
	v_or_b32_e32 v10, v18, v13
	v_cndmask_b32_e64 v15, 0, 1, vcc_lo
	v_cmp_gt_i32_e32 vcc_lo, 1, v12
	v_lshl_or_b32 v13, v11, 12, v6
	v_lshrrev_b32_e32 v5, 16, v5
	v_or_b32_e32 v15, v19, v15
	v_cndmask_b32_e32 v4, v4, v10, vcc_lo
	v_cmp_gt_i32_e32 vcc_lo, 1, v11
	v_cndmask_b32_e32 v10, v13, v15, vcc_lo
	v_cmp_ne_u32_e32 vcc_lo, 0, v14
	v_and_b32_e32 v14, 7, v4
	v_lshrrev_b32_e32 v4, 2, v4
	v_and_b32_e32 v15, 7, v10
	v_cndmask_b32_e64 v13, 0, 1, vcc_lo
	v_cmp_ne_u32_e32 vcc_lo, 0, v6
	v_cmp_eq_u32_e64 s0, 3, v14
	v_lshrrev_b32_e32 v10, 2, v10
	v_cmp_lt_i32_e64 s1, 5, v15
	v_cmp_eq_u32_e64 s2, 3, v15
	v_cndmask_b32_e64 v6, 0, 1, vcc_lo
	v_cmp_lt_i32_e32 vcc_lo, 5, v14
	v_lshl_or_b32 v13, v13, 9, 0x7c00
	v_lshl_or_b32 v6, v6, 9, 0x7c00
	s_or_b32 vcc_lo, s0, vcc_lo
	v_add_co_ci_u32_e32 v4, vcc_lo, 0, v4, vcc_lo
	s_or_b32 vcc_lo, s2, s1
	v_add_co_ci_u32_e32 v10, vcc_lo, 0, v10, vcc_lo
	v_cmp_gt_i32_e32 vcc_lo, 31, v12
	v_cndmask_b32_e32 v4, 0x7c00, v4, vcc_lo
	v_cmp_gt_i32_e32 vcc_lo, 31, v11
	v_cndmask_b32_e32 v10, 0x7c00, v10, vcc_lo
	v_cmp_eq_u32_e32 vcc_lo, 0x40f, v12
	v_cndmask_b32_e32 v4, v4, v13, vcc_lo
	v_cmp_eq_u32_e32 vcc_lo, 0x40f, v11
	v_cndmask_b32_e32 v6, v10, v6, vcc_lo
	v_and_or_b32 v10, 0x8000, v5, v4
	v_lshlrev_b64 v[4:5], 2, v[8:9]
	v_and_or_b32 v6, 0x8000, v7, v6
	v_and_b32_e32 v7, 0xffff, v10
	v_add_co_u32 v2, vcc_lo, v2, v4
	v_add_co_ci_u32_e32 v3, vcc_lo, v3, v5, vcc_lo
	v_lshl_or_b32 v4, v6, 16, v7
	global_store_dword v[2:3], v4, off
	global_load_dword v2, v[16:17], off offset:396
	ds_read_b32 v3, v107 offset:6540
	s_waitcnt lgkmcnt(0)
	v_lshrrev_b32_e32 v4, 16, v3
	s_waitcnt vmcnt(0)
	v_mul_f16_sdwa v5, v4, v2 dst_sel:DWORD dst_unused:UNUSED_PAD src0_sel:DWORD src1_sel:WORD_1
	v_mul_f16_sdwa v6, v3, v2 dst_sel:DWORD dst_unused:UNUSED_PAD src0_sel:DWORD src1_sel:WORD_1
	v_fmac_f16_e32 v5, v3, v2
	v_fma_f16 v2, v2, v4, -v6
	v_cvt_f32_f16_e32 v3, v5
	v_cvt_f32_f16_e32 v4, v2
	v_cvt_f64_f32_e32 v[2:3], v3
	v_cvt_f64_f32_e32 v[4:5], v4
	v_mul_f64 v[2:3], v[2:3], s[4:5]
	v_mul_f64 v[4:5], v[4:5], s[4:5]
	v_and_or_b32 v2, 0x1ff, v3, v2
	v_and_or_b32 v4, 0x1ff, v5, v4
	v_lshrrev_b32_e32 v6, 8, v3
	v_bfe_u32 v7, v3, 20, 11
	v_lshrrev_b32_e32 v8, 8, v5
	v_cmp_ne_u32_e32 vcc_lo, 0, v2
	v_bfe_u32 v9, v5, 20, 11
	v_lshrrev_b32_e32 v3, 16, v3
	v_sub_nc_u32_e32 v10, 0x3f1, v7
	v_add_nc_u32_e32 v7, 0xfffffc10, v7
	v_cndmask_b32_e64 v2, 0, 1, vcc_lo
	v_cmp_ne_u32_e32 vcc_lo, 0, v4
	v_lshrrev_b32_e32 v5, 16, v5
	v_and_or_b32 v2, 0xffe, v6, v2
	v_cndmask_b32_e64 v4, 0, 1, vcc_lo
	v_sub_nc_u32_e32 v6, 0x3f1, v9
	v_add_nc_u32_e32 v9, 0xfffffc10, v9
	v_and_or_b32 v4, 0xffe, v8, v4
	v_med3_i32 v8, v10, 0, 13
	v_or_b32_e32 v10, 0x1000, v2
	v_med3_i32 v6, v6, 0, 13
	v_or_b32_e32 v11, 0x1000, v4
	v_lshrrev_b32_e32 v12, v8, v10
	v_lshrrev_b32_e32 v13, v6, v11
	v_lshlrev_b32_e32 v8, v8, v12
	v_lshlrev_b32_e32 v6, v6, v13
	v_cmp_ne_u32_e32 vcc_lo, v8, v10
	v_lshl_or_b32 v10, v7, 12, v2
	v_cndmask_b32_e64 v8, 0, 1, vcc_lo
	v_cmp_ne_u32_e32 vcc_lo, v6, v11
	v_lshl_or_b32 v11, v9, 12, v4
	v_or_b32_e32 v8, v12, v8
	v_cndmask_b32_e64 v6, 0, 1, vcc_lo
	v_cmp_gt_i32_e32 vcc_lo, 1, v7
	v_or_b32_e32 v6, v13, v6
	v_cndmask_b32_e32 v8, v10, v8, vcc_lo
	v_cmp_gt_i32_e32 vcc_lo, 1, v9
	v_and_b32_e32 v10, 7, v8
	v_cndmask_b32_e32 v6, v11, v6, vcc_lo
	v_cmp_ne_u32_e32 vcc_lo, 0, v2
	v_lshrrev_b32_e32 v8, 2, v8
	v_cmp_eq_u32_e64 s0, 3, v10
	v_and_b32_e32 v11, 7, v6
	v_cndmask_b32_e64 v2, 0, 1, vcc_lo
	v_cmp_ne_u32_e32 vcc_lo, 0, v4
	v_lshrrev_b32_e32 v6, 2, v6
	v_cmp_lt_i32_e64 s1, 5, v11
	v_cmp_eq_u32_e64 s2, 3, v11
	v_cndmask_b32_e64 v4, 0, 1, vcc_lo
	v_cmp_lt_i32_e32 vcc_lo, 5, v10
	v_lshl_or_b32 v2, v2, 9, 0x7c00
	v_lshl_or_b32 v4, v4, 9, 0x7c00
	s_or_b32 vcc_lo, s0, vcc_lo
	v_add_co_ci_u32_e32 v8, vcc_lo, 0, v8, vcc_lo
	s_or_b32 vcc_lo, s2, s1
	v_add_co_ci_u32_e32 v6, vcc_lo, 0, v6, vcc_lo
	v_cmp_gt_i32_e32 vcc_lo, 31, v7
	v_cndmask_b32_e32 v8, 0x7c00, v8, vcc_lo
	v_cmp_gt_i32_e32 vcc_lo, 31, v9
	v_cndmask_b32_e32 v6, 0x7c00, v6, vcc_lo
	v_cmp_eq_u32_e32 vcc_lo, 0x40f, v7
	v_cndmask_b32_e32 v2, v8, v2, vcc_lo
	v_cmp_eq_u32_e32 vcc_lo, 0x40f, v9
	v_and_or_b32 v3, 0x8000, v3, v2
	v_cndmask_b32_e32 v4, v6, v4, vcc_lo
	v_mad_u64_u32 v[1:2], null, 0x318, s9, v[1:2]
	v_and_b32_e32 v3, 0xffff, v3
	v_and_or_b32 v2, 0x8000, v5, v4
	v_lshl_or_b32 v2, v2, 16, v3
	global_store_dword v[0:1], v2, off
.LBB0_15:
	s_endpgm
	.section	.rodata,"a",@progbits
	.p2align	6, 0x0
	.amdhsa_kernel bluestein_single_back_len1683_dim1_half_op_CI_CI
		.amdhsa_group_segment_fixed_size 6732
		.amdhsa_private_segment_fixed_size 0
		.amdhsa_kernarg_size 104
		.amdhsa_user_sgpr_count 6
		.amdhsa_user_sgpr_private_segment_buffer 1
		.amdhsa_user_sgpr_dispatch_ptr 0
		.amdhsa_user_sgpr_queue_ptr 0
		.amdhsa_user_sgpr_kernarg_segment_ptr 1
		.amdhsa_user_sgpr_dispatch_id 0
		.amdhsa_user_sgpr_flat_scratch_init 0
		.amdhsa_user_sgpr_private_segment_size 0
		.amdhsa_wavefront_size32 1
		.amdhsa_uses_dynamic_stack 0
		.amdhsa_system_sgpr_private_segment_wavefront_offset 0
		.amdhsa_system_sgpr_workgroup_id_x 1
		.amdhsa_system_sgpr_workgroup_id_y 0
		.amdhsa_system_sgpr_workgroup_id_z 0
		.amdhsa_system_sgpr_workgroup_info 0
		.amdhsa_system_vgpr_workitem_id 0
		.amdhsa_next_free_vgpr 256
		.amdhsa_next_free_sgpr 18
		.amdhsa_reserve_vcc 1
		.amdhsa_reserve_flat_scratch 0
		.amdhsa_float_round_mode_32 0
		.amdhsa_float_round_mode_16_64 0
		.amdhsa_float_denorm_mode_32 3
		.amdhsa_float_denorm_mode_16_64 3
		.amdhsa_dx10_clamp 1
		.amdhsa_ieee_mode 1
		.amdhsa_fp16_overflow 0
		.amdhsa_workgroup_processor_mode 1
		.amdhsa_memory_ordered 1
		.amdhsa_forward_progress 0
		.amdhsa_shared_vgpr_count 0
		.amdhsa_exception_fp_ieee_invalid_op 0
		.amdhsa_exception_fp_denorm_src 0
		.amdhsa_exception_fp_ieee_div_zero 0
		.amdhsa_exception_fp_ieee_overflow 0
		.amdhsa_exception_fp_ieee_underflow 0
		.amdhsa_exception_fp_ieee_inexact 0
		.amdhsa_exception_int_div_zero 0
	.end_amdhsa_kernel
	.text
.Lfunc_end0:
	.size	bluestein_single_back_len1683_dim1_half_op_CI_CI, .Lfunc_end0-bluestein_single_back_len1683_dim1_half_op_CI_CI
                                        ; -- End function
	.section	.AMDGPU.csdata,"",@progbits
; Kernel info:
; codeLenInByte = 71816
; NumSgprs: 20
; NumVgprs: 256
; ScratchSize: 0
; MemoryBound: 0
; FloatMode: 240
; IeeeMode: 1
; LDSByteSize: 6732 bytes/workgroup (compile time only)
; SGPRBlocks: 2
; VGPRBlocks: 31
; NumSGPRsForWavesPerEU: 20
; NumVGPRsForWavesPerEU: 256
; Occupancy: 4
; WaveLimiterHint : 1
; COMPUTE_PGM_RSRC2:SCRATCH_EN: 0
; COMPUTE_PGM_RSRC2:USER_SGPR: 6
; COMPUTE_PGM_RSRC2:TRAP_HANDLER: 0
; COMPUTE_PGM_RSRC2:TGID_X_EN: 1
; COMPUTE_PGM_RSRC2:TGID_Y_EN: 0
; COMPUTE_PGM_RSRC2:TGID_Z_EN: 0
; COMPUTE_PGM_RSRC2:TIDIG_COMP_CNT: 0
	.text
	.p2alignl 6, 3214868480
	.fill 48, 4, 3214868480
	.type	__hip_cuid_98205ffed12b4f83,@object ; @__hip_cuid_98205ffed12b4f83
	.section	.bss,"aw",@nobits
	.globl	__hip_cuid_98205ffed12b4f83
__hip_cuid_98205ffed12b4f83:
	.byte	0                               ; 0x0
	.size	__hip_cuid_98205ffed12b4f83, 1

	.ident	"AMD clang version 19.0.0git (https://github.com/RadeonOpenCompute/llvm-project roc-6.4.0 25133 c7fe45cf4b819c5991fe208aaa96edf142730f1d)"
	.section	".note.GNU-stack","",@progbits
	.addrsig
	.addrsig_sym __hip_cuid_98205ffed12b4f83
	.amdgpu_metadata
---
amdhsa.kernels:
  - .args:
      - .actual_access:  read_only
        .address_space:  global
        .offset:         0
        .size:           8
        .value_kind:     global_buffer
      - .actual_access:  read_only
        .address_space:  global
        .offset:         8
        .size:           8
        .value_kind:     global_buffer
      - .actual_access:  read_only
        .address_space:  global
        .offset:         16
        .size:           8
        .value_kind:     global_buffer
      - .actual_access:  read_only
        .address_space:  global
        .offset:         24
        .size:           8
        .value_kind:     global_buffer
      - .actual_access:  read_only
        .address_space:  global
        .offset:         32
        .size:           8
        .value_kind:     global_buffer
      - .offset:         40
        .size:           8
        .value_kind:     by_value
      - .address_space:  global
        .offset:         48
        .size:           8
        .value_kind:     global_buffer
      - .address_space:  global
        .offset:         56
        .size:           8
        .value_kind:     global_buffer
      - .address_space:  global
        .offset:         64
        .size:           8
        .value_kind:     global_buffer
      - .address_space:  global
        .offset:         72
        .size:           8
        .value_kind:     global_buffer
      - .offset:         80
        .size:           4
        .value_kind:     by_value
      - .address_space:  global
        .offset:         88
        .size:           8
        .value_kind:     global_buffer
      - .address_space:  global
        .offset:         96
        .size:           8
        .value_kind:     global_buffer
    .group_segment_fixed_size: 6732
    .kernarg_segment_align: 8
    .kernarg_segment_size: 104
    .language:       OpenCL C
    .language_version:
      - 2
      - 0
    .max_flat_workgroup_size: 51
    .name:           bluestein_single_back_len1683_dim1_half_op_CI_CI
    .private_segment_fixed_size: 0
    .sgpr_count:     20
    .sgpr_spill_count: 0
    .symbol:         bluestein_single_back_len1683_dim1_half_op_CI_CI.kd
    .uniform_work_group_size: 1
    .uses_dynamic_stack: false
    .vgpr_count:     256
    .vgpr_spill_count: 0
    .wavefront_size: 32
    .workgroup_processor_mode: 1
amdhsa.target:   amdgcn-amd-amdhsa--gfx1030
amdhsa.version:
  - 1
  - 2
...

	.end_amdgpu_metadata
